;; amdgpu-corpus repo=ROCm/rocFFT kind=compiled arch=gfx1201 opt=O3
	.text
	.amdgcn_target "amdgcn-amd-amdhsa--gfx1201"
	.amdhsa_code_object_version 6
	.protected	fft_rtc_back_len1638_factors_13_2_3_7_3_wgs_182_tpt_182_halfLds_sp_ip_CI_unitstride_sbrr_C2R_dirReg ; -- Begin function fft_rtc_back_len1638_factors_13_2_3_7_3_wgs_182_tpt_182_halfLds_sp_ip_CI_unitstride_sbrr_C2R_dirReg
	.globl	fft_rtc_back_len1638_factors_13_2_3_7_3_wgs_182_tpt_182_halfLds_sp_ip_CI_unitstride_sbrr_C2R_dirReg
	.p2align	8
	.type	fft_rtc_back_len1638_factors_13_2_3_7_3_wgs_182_tpt_182_halfLds_sp_ip_CI_unitstride_sbrr_C2R_dirReg,@function
fft_rtc_back_len1638_factors_13_2_3_7_3_wgs_182_tpt_182_halfLds_sp_ip_CI_unitstride_sbrr_C2R_dirReg: ; @fft_rtc_back_len1638_factors_13_2_3_7_3_wgs_182_tpt_182_halfLds_sp_ip_CI_unitstride_sbrr_C2R_dirReg
; %bb.0:
	s_clause 0x2
	s_load_b128 s[4:7], s[0:1], 0x0
	s_load_b64 s[8:9], s[0:1], 0x50
	s_load_b64 s[10:11], s[0:1], 0x18
	v_mul_u32_u24_e32 v1, 0x169, v0
	v_mov_b32_e32 v3, 0
	s_delay_alu instid0(VALU_DEP_2) | instskip(NEXT) | instid1(VALU_DEP_1)
	v_lshrrev_b32_e32 v1, 16, v1
	v_add_nc_u32_e32 v5, ttmp9, v1
	v_mov_b32_e32 v1, 0
	v_mov_b32_e32 v2, 0
	;; [unrolled: 1-line block ×3, first 2 shown]
	s_wait_kmcnt 0x0
	v_cmp_lt_u64_e64 s2, s[6:7], 2
	s_delay_alu instid0(VALU_DEP_1)
	s_and_b32 vcc_lo, exec_lo, s2
	s_cbranch_vccnz .LBB0_8
; %bb.1:
	s_load_b64 s[2:3], s[0:1], 0x10
	v_mov_b32_e32 v1, 0
	v_mov_b32_e32 v2, 0
	s_add_nc_u64 s[12:13], s[10:11], 8
	s_mov_b64 s[14:15], 1
	s_wait_kmcnt 0x0
	s_add_nc_u64 s[16:17], s[2:3], 8
	s_mov_b32 s3, 0
.LBB0_2:                                ; =>This Inner Loop Header: Depth=1
	s_load_b64 s[18:19], s[16:17], 0x0
                                        ; implicit-def: $vgpr7_vgpr8
	s_mov_b32 s2, exec_lo
	s_wait_kmcnt 0x0
	v_or_b32_e32 v4, s19, v6
	s_delay_alu instid0(VALU_DEP_1)
	v_cmpx_ne_u64_e32 0, v[3:4]
	s_wait_alu 0xfffe
	s_xor_b32 s20, exec_lo, s2
	s_cbranch_execz .LBB0_4
; %bb.3:                                ;   in Loop: Header=BB0_2 Depth=1
	s_cvt_f32_u32 s2, s18
	s_cvt_f32_u32 s21, s19
	s_sub_nc_u64 s[24:25], 0, s[18:19]
	s_wait_alu 0xfffe
	s_delay_alu instid0(SALU_CYCLE_1) | instskip(SKIP_1) | instid1(SALU_CYCLE_2)
	s_fmamk_f32 s2, s21, 0x4f800000, s2
	s_wait_alu 0xfffe
	v_s_rcp_f32 s2, s2
	s_delay_alu instid0(TRANS32_DEP_1) | instskip(SKIP_1) | instid1(SALU_CYCLE_2)
	s_mul_f32 s2, s2, 0x5f7ffffc
	s_wait_alu 0xfffe
	s_mul_f32 s21, s2, 0x2f800000
	s_wait_alu 0xfffe
	s_delay_alu instid0(SALU_CYCLE_2) | instskip(SKIP_1) | instid1(SALU_CYCLE_2)
	s_trunc_f32 s21, s21
	s_wait_alu 0xfffe
	s_fmamk_f32 s2, s21, 0xcf800000, s2
	s_cvt_u32_f32 s23, s21
	s_wait_alu 0xfffe
	s_delay_alu instid0(SALU_CYCLE_1) | instskip(SKIP_1) | instid1(SALU_CYCLE_2)
	s_cvt_u32_f32 s22, s2
	s_wait_alu 0xfffe
	s_mul_u64 s[26:27], s[24:25], s[22:23]
	s_wait_alu 0xfffe
	s_mul_hi_u32 s29, s22, s27
	s_mul_i32 s28, s22, s27
	s_mul_hi_u32 s2, s22, s26
	s_mul_i32 s30, s23, s26
	s_wait_alu 0xfffe
	s_add_nc_u64 s[28:29], s[2:3], s[28:29]
	s_mul_hi_u32 s21, s23, s26
	s_mul_hi_u32 s31, s23, s27
	s_add_co_u32 s2, s28, s30
	s_wait_alu 0xfffe
	s_add_co_ci_u32 s2, s29, s21
	s_mul_i32 s26, s23, s27
	s_add_co_ci_u32 s27, s31, 0
	s_wait_alu 0xfffe
	s_add_nc_u64 s[26:27], s[2:3], s[26:27]
	s_wait_alu 0xfffe
	v_add_co_u32 v4, s2, s22, s26
	s_delay_alu instid0(VALU_DEP_1) | instskip(SKIP_1) | instid1(VALU_DEP_1)
	s_cmp_lg_u32 s2, 0
	s_add_co_ci_u32 s23, s23, s27
	v_readfirstlane_b32 s22, v4
	s_wait_alu 0xfffe
	s_delay_alu instid0(VALU_DEP_1)
	s_mul_u64 s[24:25], s[24:25], s[22:23]
	s_wait_alu 0xfffe
	s_mul_hi_u32 s27, s22, s25
	s_mul_i32 s26, s22, s25
	s_mul_hi_u32 s2, s22, s24
	s_mul_i32 s28, s23, s24
	s_wait_alu 0xfffe
	s_add_nc_u64 s[26:27], s[2:3], s[26:27]
	s_mul_hi_u32 s21, s23, s24
	s_mul_hi_u32 s22, s23, s25
	s_wait_alu 0xfffe
	s_add_co_u32 s2, s26, s28
	s_add_co_ci_u32 s2, s27, s21
	s_mul_i32 s24, s23, s25
	s_add_co_ci_u32 s25, s22, 0
	s_wait_alu 0xfffe
	s_add_nc_u64 s[24:25], s[2:3], s[24:25]
	s_wait_alu 0xfffe
	v_add_co_u32 v4, s2, v4, s24
	s_delay_alu instid0(VALU_DEP_1) | instskip(SKIP_1) | instid1(VALU_DEP_1)
	s_cmp_lg_u32 s2, 0
	s_add_co_ci_u32 s2, s23, s25
	v_mul_hi_u32 v13, v5, v4
	s_wait_alu 0xfffe
	v_mad_co_u64_u32 v[7:8], null, v5, s2, 0
	v_mad_co_u64_u32 v[9:10], null, v6, v4, 0
	;; [unrolled: 1-line block ×3, first 2 shown]
	s_delay_alu instid0(VALU_DEP_3) | instskip(SKIP_1) | instid1(VALU_DEP_4)
	v_add_co_u32 v4, vcc_lo, v13, v7
	s_wait_alu 0xfffd
	v_add_co_ci_u32_e32 v7, vcc_lo, 0, v8, vcc_lo
	s_delay_alu instid0(VALU_DEP_2) | instskip(SKIP_1) | instid1(VALU_DEP_2)
	v_add_co_u32 v4, vcc_lo, v4, v9
	s_wait_alu 0xfffd
	v_add_co_ci_u32_e32 v4, vcc_lo, v7, v10, vcc_lo
	s_wait_alu 0xfffd
	v_add_co_ci_u32_e32 v7, vcc_lo, 0, v12, vcc_lo
	s_delay_alu instid0(VALU_DEP_2) | instskip(SKIP_1) | instid1(VALU_DEP_2)
	v_add_co_u32 v4, vcc_lo, v4, v11
	s_wait_alu 0xfffd
	v_add_co_ci_u32_e32 v9, vcc_lo, 0, v7, vcc_lo
	s_delay_alu instid0(VALU_DEP_2) | instskip(SKIP_1) | instid1(VALU_DEP_3)
	v_mul_lo_u32 v10, s19, v4
	v_mad_co_u64_u32 v[7:8], null, s18, v4, 0
	v_mul_lo_u32 v11, s18, v9
	s_delay_alu instid0(VALU_DEP_2) | instskip(NEXT) | instid1(VALU_DEP_2)
	v_sub_co_u32 v7, vcc_lo, v5, v7
	v_add3_u32 v8, v8, v11, v10
	s_delay_alu instid0(VALU_DEP_1) | instskip(SKIP_1) | instid1(VALU_DEP_1)
	v_sub_nc_u32_e32 v10, v6, v8
	s_wait_alu 0xfffd
	v_subrev_co_ci_u32_e64 v10, s2, s19, v10, vcc_lo
	v_add_co_u32 v11, s2, v4, 2
	s_wait_alu 0xf1ff
	v_add_co_ci_u32_e64 v12, s2, 0, v9, s2
	v_sub_co_u32 v13, s2, v7, s18
	v_sub_co_ci_u32_e32 v8, vcc_lo, v6, v8, vcc_lo
	s_wait_alu 0xf1ff
	v_subrev_co_ci_u32_e64 v10, s2, 0, v10, s2
	s_delay_alu instid0(VALU_DEP_3) | instskip(NEXT) | instid1(VALU_DEP_3)
	v_cmp_le_u32_e32 vcc_lo, s18, v13
	v_cmp_eq_u32_e64 s2, s19, v8
	s_wait_alu 0xfffd
	v_cndmask_b32_e64 v13, 0, -1, vcc_lo
	v_cmp_le_u32_e32 vcc_lo, s19, v10
	s_wait_alu 0xfffd
	v_cndmask_b32_e64 v14, 0, -1, vcc_lo
	v_cmp_le_u32_e32 vcc_lo, s18, v7
	;; [unrolled: 3-line block ×3, first 2 shown]
	s_wait_alu 0xfffd
	v_cndmask_b32_e64 v15, 0, -1, vcc_lo
	v_cmp_eq_u32_e32 vcc_lo, s19, v10
	s_wait_alu 0xf1ff
	s_delay_alu instid0(VALU_DEP_2)
	v_cndmask_b32_e64 v7, v15, v7, s2
	s_wait_alu 0xfffd
	v_cndmask_b32_e32 v10, v14, v13, vcc_lo
	v_add_co_u32 v13, vcc_lo, v4, 1
	s_wait_alu 0xfffd
	v_add_co_ci_u32_e32 v14, vcc_lo, 0, v9, vcc_lo
	s_delay_alu instid0(VALU_DEP_3) | instskip(SKIP_2) | instid1(VALU_DEP_3)
	v_cmp_ne_u32_e32 vcc_lo, 0, v10
	s_wait_alu 0xfffd
	v_cndmask_b32_e32 v10, v13, v11, vcc_lo
	v_cndmask_b32_e32 v8, v14, v12, vcc_lo
	v_cmp_ne_u32_e32 vcc_lo, 0, v7
	s_wait_alu 0xfffd
	s_delay_alu instid0(VALU_DEP_2)
	v_dual_cndmask_b32 v7, v4, v10 :: v_dual_cndmask_b32 v8, v9, v8
.LBB0_4:                                ;   in Loop: Header=BB0_2 Depth=1
	s_wait_alu 0xfffe
	s_and_not1_saveexec_b32 s2, s20
	s_cbranch_execz .LBB0_6
; %bb.5:                                ;   in Loop: Header=BB0_2 Depth=1
	v_cvt_f32_u32_e32 v4, s18
	s_sub_co_i32 s20, 0, s18
	s_delay_alu instid0(VALU_DEP_1) | instskip(NEXT) | instid1(TRANS32_DEP_1)
	v_rcp_iflag_f32_e32 v4, v4
	v_mul_f32_e32 v4, 0x4f7ffffe, v4
	s_delay_alu instid0(VALU_DEP_1) | instskip(SKIP_1) | instid1(VALU_DEP_1)
	v_cvt_u32_f32_e32 v4, v4
	s_wait_alu 0xfffe
	v_mul_lo_u32 v7, s20, v4
	s_delay_alu instid0(VALU_DEP_1) | instskip(NEXT) | instid1(VALU_DEP_1)
	v_mul_hi_u32 v7, v4, v7
	v_add_nc_u32_e32 v4, v4, v7
	s_delay_alu instid0(VALU_DEP_1) | instskip(NEXT) | instid1(VALU_DEP_1)
	v_mul_hi_u32 v4, v5, v4
	v_mul_lo_u32 v7, v4, s18
	v_add_nc_u32_e32 v8, 1, v4
	s_delay_alu instid0(VALU_DEP_2) | instskip(NEXT) | instid1(VALU_DEP_1)
	v_sub_nc_u32_e32 v7, v5, v7
	v_subrev_nc_u32_e32 v9, s18, v7
	v_cmp_le_u32_e32 vcc_lo, s18, v7
	s_wait_alu 0xfffd
	s_delay_alu instid0(VALU_DEP_2) | instskip(NEXT) | instid1(VALU_DEP_1)
	v_dual_cndmask_b32 v7, v7, v9 :: v_dual_cndmask_b32 v4, v4, v8
	v_cmp_le_u32_e32 vcc_lo, s18, v7
	s_delay_alu instid0(VALU_DEP_2) | instskip(SKIP_1) | instid1(VALU_DEP_1)
	v_add_nc_u32_e32 v8, 1, v4
	s_wait_alu 0xfffd
	v_dual_cndmask_b32 v7, v4, v8 :: v_dual_mov_b32 v8, v3
.LBB0_6:                                ;   in Loop: Header=BB0_2 Depth=1
	s_wait_alu 0xfffe
	s_or_b32 exec_lo, exec_lo, s2
	s_load_b64 s[20:21], s[12:13], 0x0
	s_delay_alu instid0(VALU_DEP_1)
	v_mul_lo_u32 v4, v8, s18
	v_mul_lo_u32 v11, v7, s19
	v_mad_co_u64_u32 v[9:10], null, v7, s18, 0
	s_add_nc_u64 s[14:15], s[14:15], 1
	s_add_nc_u64 s[12:13], s[12:13], 8
	s_wait_alu 0xfffe
	v_cmp_ge_u64_e64 s2, s[14:15], s[6:7]
	s_add_nc_u64 s[16:17], s[16:17], 8
	s_delay_alu instid0(VALU_DEP_2) | instskip(NEXT) | instid1(VALU_DEP_3)
	v_add3_u32 v4, v10, v11, v4
	v_sub_co_u32 v5, vcc_lo, v5, v9
	s_wait_alu 0xfffd
	s_delay_alu instid0(VALU_DEP_2) | instskip(SKIP_3) | instid1(VALU_DEP_2)
	v_sub_co_ci_u32_e32 v4, vcc_lo, v6, v4, vcc_lo
	s_and_b32 vcc_lo, exec_lo, s2
	s_wait_kmcnt 0x0
	v_mul_lo_u32 v6, s21, v5
	v_mul_lo_u32 v4, s20, v4
	v_mad_co_u64_u32 v[1:2], null, s20, v5, v[1:2]
	s_delay_alu instid0(VALU_DEP_1)
	v_add3_u32 v2, v6, v2, v4
	s_wait_alu 0xfffe
	s_cbranch_vccnz .LBB0_9
; %bb.7:                                ;   in Loop: Header=BB0_2 Depth=1
	v_dual_mov_b32 v5, v7 :: v_dual_mov_b32 v6, v8
	s_branch .LBB0_2
.LBB0_8:
	v_dual_mov_b32 v8, v6 :: v_dual_mov_b32 v7, v5
.LBB0_9:
	s_lshl_b64 s[2:3], s[6:7], 3
	v_mul_hi_u32 v5, 0x1681682, v0
	s_wait_alu 0xfffe
	s_add_nc_u64 s[2:3], s[10:11], s[2:3]
	s_load_b64 s[2:3], s[2:3], 0x0
	s_load_b64 s[0:1], s[0:1], 0x20
	s_wait_kmcnt 0x0
	v_mul_lo_u32 v3, s2, v8
	v_mul_lo_u32 v4, s3, v7
	v_mad_co_u64_u32 v[1:2], null, s2, v7, v[1:2]
	v_cmp_gt_u64_e32 vcc_lo, s[0:1], v[7:8]
	s_delay_alu instid0(VALU_DEP_2) | instskip(SKIP_1) | instid1(VALU_DEP_2)
	v_add3_u32 v2, v4, v2, v3
	v_mul_u32_u24_e32 v3, 0xb6, v5
	v_lshlrev_b64_e32 v[34:35], 3, v[1:2]
	s_delay_alu instid0(VALU_DEP_2)
	v_sub_nc_u32_e32 v32, v0, v3
	s_and_saveexec_b32 s1, vcc_lo
	s_cbranch_execz .LBB0_13
; %bb.10:
	s_delay_alu instid0(VALU_DEP_1)
	v_lshl_add_u32 v20, v32, 3, 0
	v_mov_b32_e32 v33, 0
	v_add_co_u32 v0, s0, s8, v34
	s_wait_alu 0xf1ff
	v_add_co_ci_u32_e64 v1, s0, s9, v35, s0
	v_add_nc_u32_e32 v22, 0x1600, v20
	v_lshlrev_b64_e32 v[2:3], 3, v[32:33]
	v_add_nc_u32_e32 v21, 0xa00, v20
	v_add_nc_u32_e32 v23, 0x2000, v20
	s_mov_b32 s2, exec_lo
	s_delay_alu instid0(VALU_DEP_3)
	v_add_co_u32 v2, s0, v0, v2
	s_wait_alu 0xf1ff
	v_add_co_ci_u32_e64 v3, s0, v1, v3, s0
	s_clause 0x8
	global_load_b64 v[4:5], v[2:3], off
	global_load_b64 v[6:7], v[2:3], off offset:1456
	global_load_b64 v[8:9], v[2:3], off offset:2912
	;; [unrolled: 1-line block ×8, first 2 shown]
	s_wait_loadcnt 0x7
	ds_store_2addr_b64 v20, v[4:5], v[6:7] offset1:182
	s_wait_loadcnt 0x5
	ds_store_2addr_b64 v21, v[8:9], v[10:11] offset0:44 offset1:226
	s_wait_loadcnt 0x3
	ds_store_2addr_b64 v22, v[12:13], v[14:15] offset0:24 offset1:206
	;; [unrolled: 2-line block ×3, first 2 shown]
	s_wait_loadcnt 0x0
	ds_store_b64 v20, v[2:3] offset:11648
	v_cmpx_eq_u32_e32 0xb5, v32
	s_cbranch_execz .LBB0_12
; %bb.11:
	global_load_b64 v[0:1], v[0:1], off offset:13104
	v_mov_b32_e32 v32, 0xb5
	s_wait_loadcnt 0x0
	ds_store_b64 v33, v[0:1] offset:13104
.LBB0_12:
	s_wait_alu 0xfffe
	s_or_b32 exec_lo, exec_lo, s2
.LBB0_13:
	s_wait_alu 0xfffe
	s_or_b32 exec_lo, exec_lo, s1
	v_lshlrev_b32_e32 v0, 3, v32
	global_wb scope:SCOPE_SE
	s_wait_dscnt 0x0
	s_barrier_signal -1
	s_barrier_wait -1
	global_inv scope:SCOPE_SE
	v_add_nc_u32_e32 v40, 0, v0
	v_sub_nc_u32_e32 v4, 0, v0
	s_mov_b32 s1, exec_lo
                                        ; implicit-def: $vgpr2_vgpr3
	ds_load_b32 v5, v40
	ds_load_b32 v6, v4 offset:13104
	s_wait_dscnt 0x0
	v_dual_sub_f32 v1, v5, v6 :: v_dual_add_f32 v0, v6, v5
	v_cmpx_ne_u32_e32 0, v32
	s_wait_alu 0xfffe
	s_xor_b32 s1, exec_lo, s1
	s_cbranch_execz .LBB0_15
; %bb.14:
	v_dual_mov_b32 v33, 0 :: v_dual_sub_f32 v8, v5, v6
	s_delay_alu instid0(VALU_DEP_1) | instskip(NEXT) | instid1(VALU_DEP_1)
	v_lshlrev_b64_e32 v[0:1], 3, v[32:33]
	v_add_co_u32 v0, s0, s4, v0
	s_wait_alu 0xf1ff
	s_delay_alu instid0(VALU_DEP_2)
	v_add_co_ci_u32_e64 v1, s0, s5, v1, s0
	global_load_b64 v[2:3], v[0:1], off offset:13000
	ds_load_b32 v0, v4 offset:13108
	ds_load_b32 v1, v40 offset:4
	v_add_f32_e32 v7, v6, v5
	s_wait_dscnt 0x0
	v_dual_add_f32 v9, v0, v1 :: v_dual_sub_f32 v0, v1, v0
	s_wait_loadcnt 0x0
	s_delay_alu instid0(VALU_DEP_2) | instskip(NEXT) | instid1(VALU_DEP_2)
	v_fma_f32 v5, -v8, v3, v7
	v_fma_f32 v6, v9, v3, -v0
	v_fma_f32 v10, v8, v3, v7
	v_fma_f32 v1, v9, v3, v0
	s_delay_alu instid0(VALU_DEP_3) | instskip(NEXT) | instid1(VALU_DEP_3)
	v_dual_fmac_f32 v5, v2, v9 :: v_dual_fmac_f32 v6, v8, v2
	v_fma_f32 v0, -v2, v9, v10
	s_delay_alu instid0(VALU_DEP_3)
	v_fmac_f32_e32 v1, v8, v2
	v_dual_mov_b32 v2, v32 :: v_dual_mov_b32 v3, v33
	ds_store_b64 v4, v[5:6] offset:13104
.LBB0_15:
	s_wait_alu 0xfffe
	s_and_not1_saveexec_b32 s0, s1
	s_cbranch_execz .LBB0_17
; %bb.16:
	v_mov_b32_e32 v7, 0
	ds_load_b64 v[2:3], v7 offset:6552
	s_wait_dscnt 0x0
	v_dual_mul_f32 v6, -2.0, v3 :: v_dual_add_f32 v5, v2, v2
	v_mov_b32_e32 v2, 0
	v_mov_b32_e32 v3, 0
	ds_store_b64 v7, v[5:6] offset:6552
.LBB0_17:
	s_wait_alu 0xfffe
	s_or_b32 exec_lo, exec_lo, s0
	v_lshlrev_b64_e32 v[2:3], 3, v[2:3]
	s_add_nc_u64 s[0:1], s[4:5], 0x32c8
	s_wait_alu 0xfffe
	s_delay_alu instid0(VALU_DEP_1) | instskip(SKIP_1) | instid1(VALU_DEP_2)
	v_add_co_u32 v2, s0, s0, v2
	s_wait_alu 0xf1ff
	v_add_co_ci_u32_e64 v3, s0, s1, v3, s0
	v_cmp_gt_u32_e64 s0, 0x5b, v32
	s_clause 0x2
	global_load_b64 v[5:6], v[2:3], off offset:1456
	global_load_b64 v[7:8], v[2:3], off offset:2912
	;; [unrolled: 1-line block ×3, first 2 shown]
	ds_store_b64 v40, v[0:1]
	ds_load_b64 v[0:1], v40 offset:1456
	ds_load_b64 v[11:12], v4 offset:11648
	s_wait_dscnt 0x0
	v_add_f32_e32 v13, v0, v11
	v_add_f32_e32 v14, v12, v1
	v_dual_sub_f32 v15, v0, v11 :: v_dual_sub_f32 v0, v1, v12
	s_wait_loadcnt 0x2
	s_delay_alu instid0(VALU_DEP_1) | instskip(NEXT) | instid1(VALU_DEP_2)
	v_fma_f32 v16, v15, v6, v13
	v_fma_f32 v1, v14, v6, v0
	v_fma_f32 v11, -v15, v6, v13
	v_fma_f32 v12, v14, v6, -v0
	s_delay_alu instid0(VALU_DEP_4) | instskip(NEXT) | instid1(VALU_DEP_4)
	v_fma_f32 v0, -v5, v14, v16
	v_fmac_f32_e32 v1, v15, v5
	s_delay_alu instid0(VALU_DEP_3)
	v_dual_fmac_f32 v11, v5, v14 :: v_dual_fmac_f32 v12, v15, v5
	ds_store_b64 v40, v[0:1] offset:1456
	ds_store_b64 v4, v[11:12] offset:11648
	ds_load_b64 v[0:1], v40 offset:2912
	ds_load_b64 v[5:6], v4 offset:10192
	s_wait_dscnt 0x0
	v_add_f32_e32 v11, v0, v5
	v_add_f32_e32 v12, v6, v1
	v_dual_sub_f32 v13, v0, v5 :: v_dual_sub_f32 v0, v1, v6
	s_wait_loadcnt 0x1
	s_delay_alu instid0(VALU_DEP_1) | instskip(NEXT) | instid1(VALU_DEP_2)
	v_fma_f32 v14, v13, v8, v11
	v_fma_f32 v1, v12, v8, v0
	v_fma_f32 v5, -v13, v8, v11
	v_fma_f32 v6, v12, v8, -v0
	s_delay_alu instid0(VALU_DEP_4) | instskip(NEXT) | instid1(VALU_DEP_4)
	v_fma_f32 v0, -v7, v12, v14
	v_fmac_f32_e32 v1, v13, v7
	s_delay_alu instid0(VALU_DEP_3)
	v_dual_fmac_f32 v5, v7, v12 :: v_dual_fmac_f32 v6, v13, v7
	ds_store_b64 v40, v[0:1] offset:2912
	ds_store_b64 v4, v[5:6] offset:10192
	;; [unrolled: 19-line block ×3, first 2 shown]
	s_and_saveexec_b32 s1, s0
	s_cbranch_execz .LBB0_19
; %bb.18:
	global_load_b64 v[0:1], v[2:3], off offset:5824
	ds_load_b64 v[2:3], v40 offset:5824
	ds_load_b64 v[5:6], v4 offset:7280
	s_wait_dscnt 0x0
	v_dual_add_f32 v8, v6, v3 :: v_dual_sub_f32 v3, v3, v6
	v_sub_f32_e32 v9, v2, v5
	v_add_f32_e32 v7, v2, v5
	s_wait_loadcnt 0x0
	s_delay_alu instid0(VALU_DEP_3) | instskip(SKIP_1) | instid1(VALU_DEP_2)
	v_fma_f32 v2, v8, v1, v3
	v_fma_f32 v6, v8, v1, -v3
	v_fmac_f32_e32 v2, v9, v0
	v_fma_f32 v10, v9, v1, v7
	v_fma_f32 v5, -v9, v1, v7
	s_delay_alu instid0(VALU_DEP_4) | instskip(NEXT) | instid1(VALU_DEP_3)
	v_fmac_f32_e32 v6, v9, v0
	v_fma_f32 v1, -v0, v8, v10
	s_delay_alu instid0(VALU_DEP_3)
	v_fmac_f32_e32 v5, v0, v8
	ds_store_b64 v40, v[1:2] offset:5824
	ds_store_b64 v4, v[5:6] offset:7280
.LBB0_19:
	s_wait_alu 0xfffe
	s_or_b32 exec_lo, exec_lo, s1
	global_wb scope:SCOPE_SE
	s_wait_dscnt 0x0
	s_barrier_signal -1
	s_barrier_wait -1
	global_inv scope:SCOPE_SE
	global_wb scope:SCOPE_SE
	s_barrier_signal -1
	s_barrier_wait -1
	global_inv scope:SCOPE_SE
	ds_load_2addr_b64 v[12:15], v40 offset1:126
	ds_load_b64 v[2:3], v40 offset:12096
	v_add_nc_u32_e32 v0, 0x400, v40
	v_add_nc_u32_e32 v33, 0x2400, v40
	;; [unrolled: 1-line block ×3, first 2 shown]
	s_mov_b32 s2, exec_lo
	s_wait_dscnt 0x0
	v_add_f32_e32 v67, v2, v14
	v_dual_sub_f32 v77, v15, v3 :: v_dual_sub_f32 v68, v14, v2
	ds_load_2addr_b64 v[28:31], v0 offset0:124 offset1:250
	ds_load_2addr_b64 v[8:11], v33 offset0:108 offset1:234
	v_dual_add_f32 v69, v3, v15 :: v_dual_add_nc_u32 v0, 0xc00, v40
	v_mul_f32_e32 v41, 0xbeedf032, v77
	v_add_nc_u32_e32 v1, 0x1400, v40
	s_delay_alu instid0(VALU_DEP_3)
	v_mul_f32_e32 v42, 0x3f62ad3f, v69
	s_wait_dscnt 0x0
	v_dual_mul_f32 v48, 0x3f116cb1, v69 :: v_dual_add_f32 v85, v9, v31
	v_sub_f32_e32 v84, v29, v11
	v_mul_f32_e32 v46, 0xbf52af12, v77
	v_add_f32_e32 v74, v11, v29
	ds_load_2addr_b64 v[24:27], v0 offset0:120 offset1:246
	ds_load_2addr_b64 v[20:23], v1 offset0:116 offset1:242
	v_fma_f32 v0, 0x3f62ad3f, v67, -v41
	v_mul_f32_e32 v43, 0xbf52af12, v84
	v_dual_add_f32 v70, v10, v28 :: v_dual_sub_f32 v71, v28, v10
	v_fmamk_f32 v1, v68, 0xbeedf032, v42
	s_delay_alu instid0(VALU_DEP_4)
	v_add_f32_e32 v0, v12, v0
	ds_load_2addr_b64 v[16:19], v4 offset0:112 offset1:238
	v_fma_f32 v7, 0x3f116cb1, v70, -v43
	v_fma_f32 v4, 0x3f116cb1, v67, -v46
	v_add_f32_e32 v1, v13, v1
	v_fmamk_f32 v5, v68, 0xbf52af12, v48
	v_sub_f32_e32 v95, v31, v9
	v_add_f32_e32 v0, v7, v0
	v_mul_f32_e32 v44, 0x3f116cb1, v74
	v_mul_f32_e32 v52, 0xbf7e222b, v77
	v_dual_add_f32 v4, v12, v4 :: v_dual_add_f32 v5, v13, v5
	v_mul_f32_e32 v56, 0xbeb58ec6, v74
	s_delay_alu instid0(VALU_DEP_4) | instskip(SKIP_3) | instid1(VALU_DEP_4)
	v_dual_fmamk_f32 v36, v71, 0xbf52af12, v44 :: v_dual_sub_f32 v73, v30, v8
	v_mul_f32_e32 v45, 0xbf7e222b, v95
	v_fma_f32 v6, 0x3df6dbef, v67, -v52
	v_mul_f32_e32 v51, 0xbf6f5d39, v84
	v_add_f32_e32 v1, v36, v1
	v_dual_add_f32 v72, v8, v30 :: v_dual_mul_f32 v47, 0x3df6dbef, v85
	s_delay_alu instid0(VALU_DEP_4)
	v_add_f32_e32 v6, v12, v6
	v_fmamk_f32 v36, v71, 0xbf6f5d39, v56
	v_mul_f32_e32 v60, 0xbe750f2a, v84
	v_fma_f32 v7, 0xbeb58ec6, v70, -v51
	s_wait_dscnt 0x0
	v_sub_f32_e32 v97, v25, v19
	v_dual_mul_f32 v63, 0xbf788fa5, v85 :: v_dual_sub_f32 v76, v24, v18
	v_add_f32_e32 v5, v36, v5
	v_fma_f32 v37, 0xbf788fa5, v70, -v60
	v_add_f32_e32 v4, v7, v4
	v_add_f32_e32 v94, v19, v25
	v_fma_f32 v38, 0x3df6dbef, v72, -v45
	v_add_f32_e32 v75, v18, v24
	v_add_f32_e32 v7, v37, v6
	v_fmamk_f32 v37, v73, 0xbe750f2a, v63
	v_fmamk_f32 v6, v73, 0xbf7e222b, v47
	v_mul_f32_e32 v50, 0xbeb58ec6, v94
	v_dual_add_f32 v0, v38, v0 :: v_dual_mul_f32 v57, 0xbe750f2a, v95
	v_mul_f32_e32 v55, 0x3f29c268, v97
	s_delay_alu instid0(VALU_DEP_4) | instskip(NEXT) | instid1(VALU_DEP_4)
	v_add_f32_e32 v1, v6, v1
	v_dual_mul_f32 v49, 0xbf6f5d39, v97 :: v_dual_fmamk_f32 v6, v76, 0xbf6f5d39, v50
	s_delay_alu instid0(VALU_DEP_4) | instskip(SKIP_1) | instid1(VALU_DEP_3)
	v_fma_f32 v36, 0xbf788fa5, v72, -v57
	v_dual_sub_f32 v105, v27, v17 :: v_dual_add_f32 v96, v17, v27
	v_fma_f32 v38, 0xbeb58ec6, v75, -v49
	s_delay_alu instid0(VALU_DEP_4) | instskip(NEXT) | instid1(VALU_DEP_4)
	v_dual_add_f32 v1, v6, v1 :: v_dual_mul_f32 v64, 0xbf3f9e67, v94
	v_dual_add_f32 v4, v36, v4 :: v_dual_add_f32 v5, v37, v5
	s_delay_alu instid0(VALU_DEP_3) | instskip(SKIP_3) | instid1(VALU_DEP_3)
	v_add_f32_e32 v0, v38, v0
	v_fma_f32 v6, 0xbf3f9e67, v75, -v55
	v_dual_add_f32 v79, v16, v26 :: v_dual_sub_f32 v80, v26, v16
	v_dual_mul_f32 v58, 0x3f7e222b, v105 :: v_dual_sub_f32 v87, v20, v22
	v_dual_mul_f32 v53, 0xbf29c268, v105 :: v_dual_add_f32 v4, v6, v4
	v_add_f32_e32 v102, v23, v21
	s_delay_alu instid0(VALU_DEP_3) | instskip(SKIP_3) | instid1(VALU_DEP_4)
	v_fma_f32 v38, 0x3df6dbef, v79, -v58
	v_fmamk_f32 v36, v76, 0x3f29c268, v64
	v_mul_f32_e32 v54, 0xbf3f9e67, v96
	v_fma_f32 v37, 0xbf3f9e67, v79, -v53
	v_dual_mul_f32 v65, 0x3f62ad3f, v102 :: v_dual_add_f32 v4, v38, v4
	s_delay_alu instid0(VALU_DEP_4) | instskip(NEXT) | instid1(VALU_DEP_3)
	v_add_f32_e32 v5, v36, v5
	v_dual_mul_f32 v61, 0xbf788fa5, v102 :: v_dual_add_f32 v0, v37, v0
	s_delay_alu instid0(VALU_DEP_3) | instskip(SKIP_4) | instid1(VALU_DEP_3)
	v_dual_fmamk_f32 v38, v87, 0x3eedf032, v65 :: v_dual_mul_f32 v99, 0x3eedf032, v95
	v_fmamk_f32 v6, v80, 0xbf29c268, v54
	v_mul_f32_e32 v108, 0xbf3f9e67, v74
	v_mul_f32_e32 v66, 0x3df6dbef, v96
	v_dual_add_f32 v86, v22, v20 :: v_dual_mul_f32 v83, 0x3f6f5d39, v95
	v_dual_add_f32 v1, v6, v1 :: v_dual_fmamk_f32 v100, v71, 0x3f29c268, v108
	v_fmamk_f32 v36, v87, 0xbe750f2a, v61
	v_sub_f32_e32 v112, v21, v23
	v_fmamk_f32 v6, v80, 0x3f7e222b, v66
	v_mul_f32_e32 v81, 0x3eedf032, v97
	v_mul_f32_e32 v93, 0xbf788fa5, v74
	v_add_f32_e32 v1, v36, v1
	v_mul_f32_e32 v59, 0xbe750f2a, v112
	v_dual_mul_f32 v62, 0x3eedf032, v112 :: v_dual_add_f32 v5, v6, v5
	v_dual_mul_f32 v106, 0xbeb58ec6, v69 :: v_dual_mul_f32 v119, 0xbeb58ec6, v102
	s_delay_alu instid0(VALU_DEP_3) | instskip(NEXT) | instid1(VALU_DEP_3)
	v_fma_f32 v6, 0xbf788fa5, v86, -v59
	v_fma_f32 v37, 0x3f62ad3f, v86, -v62
	v_mul_f32_e32 v88, 0xbeb58ec6, v85
	v_mul_f32_e32 v90, 0x3f116cb1, v96
	;; [unrolled: 1-line block ×3, first 2 shown]
	v_add_f32_e32 v0, v6, v0
	v_dual_add_f32 v6, v37, v4 :: v_dual_fmamk_f32 v37, v71, 0xbe750f2a, v93
	v_fma_f32 v4, 0xbeb58ec6, v72, -v83
	v_fmamk_f32 v132, v87, 0xbf6f5d39, v119
	v_mul_f32_e32 v122, 0xbf3f9e67, v69
	v_fma_f32 v39, 0x3f116cb1, v79, -v82
	s_delay_alu instid0(VALU_DEP_4)
	v_dual_mul_f32 v91, 0xbf3f9e67, v102 :: v_dual_add_f32 v4, v4, v7
	v_fma_f32 v7, 0x3f62ad3f, v75, -v81
	v_mul_f32_e32 v78, 0xbf29c268, v112
	v_fmamk_f32 v104, v68, 0xbf29c268, v122
	v_mul_f32_e32 v98, 0xbf6f5d39, v77
	v_fmamk_f32 v125, v87, 0xbf29c268, v91
	v_dual_add_f32 v4, v7, v4 :: v_dual_add_f32 v7, v38, v5
	v_fma_f32 v5, 0xbf3f9e67, v86, -v78
	s_delay_alu instid0(VALU_DEP_4) | instskip(SKIP_1) | instid1(VALU_DEP_4)
	v_fma_f32 v38, 0xbeb58ec6, v67, -v98
	v_mul_f32_e32 v103, 0x3f29c268, v84
	v_dual_add_f32 v4, v39, v4 :: v_dual_mul_f32 v101, 0xbf7e222b, v97
	v_mul_f32_e32 v120, 0xbf788fa5, v94
	s_delay_alu instid0(VALU_DEP_4) | instskip(NEXT) | instid1(VALU_DEP_4)
	v_add_f32_e32 v38, v12, v38
	v_fma_f32 v39, 0xbf3f9e67, v70, -v103
	s_delay_alu instid0(VALU_DEP_4) | instskip(SKIP_1) | instid1(VALU_DEP_3)
	v_dual_add_f32 v4, v5, v4 :: v_dual_fmamk_f32 v5, v68, 0xbf6f5d39, v106
	v_mul_f32_e32 v107, 0xbf788fa5, v96
	v_dual_mul_f32 v117, 0x3f7e222b, v84 :: v_dual_add_f32 v38, v39, v38
	v_fma_f32 v39, 0x3f62ad3f, v72, -v99
	s_delay_alu instid0(VALU_DEP_4) | instskip(SKIP_3) | instid1(VALU_DEP_4)
	v_add_f32_e32 v5, v13, v5
	v_fmamk_f32 v113, v76, 0x3e750f2a, v120
	v_mul_f32_e32 v89, 0x3f62ad3f, v94
	v_mul_f32_e32 v110, 0x3df6dbef, v94
	v_dual_add_f32 v38, v39, v38 :: v_dual_add_f32 v5, v100, v5
	v_fma_f32 v39, 0x3df6dbef, v75, -v101
	v_mul_f32_e32 v100, 0x3e750f2a, v105
	v_mul_f32_e32 v109, 0x3f62ad3f, v85
	;; [unrolled: 1-line block ×4, first 2 shown]
	v_add_f32_e32 v38, v39, v38
	v_fma_f32 v39, 0xbf788fa5, v79, -v100
	v_dual_mul_f32 v92, 0x3df6dbef, v69 :: v_dual_mul_f32 v123, 0x3df6dbef, v74
	v_mul_f32_e32 v116, 0x3eedf032, v105
	global_wb scope:SCOPE_SE
	s_barrier_signal -1
	v_fmamk_f32 v36, v68, 0xbf7e222b, v92
	s_barrier_wait -1
	global_inv scope:SCOPE_SE
	v_mul_f32_e32 v115, 0x3e750f2a, v97
	v_dual_fmamk_f32 v111, v71, 0x3f7e222b, v123 :: v_dual_add_f32 v36, v13, v36
	v_mul_f32_e32 v121, 0x3f62ad3f, v96
	s_delay_alu instid0(VALU_DEP_2) | instskip(SKIP_1) | instid1(VALU_DEP_3)
	v_add_f32_e32 v36, v37, v36
	v_fmamk_f32 v37, v73, 0x3f6f5d39, v88
	v_fmamk_f32 v128, v80, 0x3eedf032, v121
	s_delay_alu instid0(VALU_DEP_2) | instskip(NEXT) | instid1(VALU_DEP_1)
	v_dual_add_f32 v36, v37, v36 :: v_dual_fmamk_f32 v37, v76, 0x3eedf032, v89
	v_dual_add_f32 v36, v37, v36 :: v_dual_fmamk_f32 v37, v80, 0xbf52af12, v90
	s_delay_alu instid0(VALU_DEP_1) | instskip(SKIP_1) | instid1(VALU_DEP_1)
	v_add_f32_e32 v36, v37, v36
	v_fmamk_f32 v37, v73, 0x3eedf032, v109
	v_add_f32_e32 v5, v37, v5
	v_fmamk_f32 v37, v76, 0xbf7e222b, v110
	s_delay_alu instid0(VALU_DEP_1) | instskip(SKIP_1) | instid1(VALU_DEP_1)
	v_add_f32_e32 v5, v37, v5
	v_dual_add_f32 v37, v39, v38 :: v_dual_fmamk_f32 v38, v80, 0x3e750f2a, v107
	v_add_f32_e32 v126, v38, v5
	v_mul_f32_e32 v114, 0xbf29c268, v77
	v_fma_f32 v38, 0x3df6dbef, v70, -v117
	s_delay_alu instid0(VALU_DEP_2) | instskip(NEXT) | instid1(VALU_DEP_1)
	v_fma_f32 v39, 0xbf3f9e67, v67, -v114
	v_add_f32_e32 v5, v12, v39
	v_add_f32_e32 v39, v13, v104
	s_delay_alu instid0(VALU_DEP_1) | instskip(SKIP_2) | instid1(VALU_DEP_2)
	v_dual_add_f32 v5, v38, v5 :: v_dual_add_f32 v38, v111, v39
	v_fmamk_f32 v111, v73, 0xbf52af12, v124
	v_fma_f32 v39, 0x3f116cb1, v72, -v118
	v_add_f32_e32 v38, v111, v38
	s_delay_alu instid0(VALU_DEP_2) | instskip(SKIP_4) | instid1(VALU_DEP_4)
	v_add_f32_e32 v5, v39, v5
	v_fma_f32 v39, 0xbf788fa5, v75, -v115
	v_mul_f32_e32 v111, 0x3f116cb1, v102
	v_mul_f32_e32 v104, 0x3f52af12, v112
	v_dual_add_f32 v38, v113, v38 :: v_dual_mul_f32 v113, 0xbf6f5d39, v112
	v_add_f32_e32 v5, v39, v5
	s_delay_alu instid0(VALU_DEP_4) | instskip(SKIP_4) | instid1(VALU_DEP_4)
	v_fmamk_f32 v129, v87, 0x3f52af12, v111
	v_fma_f32 v39, 0x3f62ad3f, v79, -v116
	v_fma_f32 v127, 0x3f116cb1, v86, -v104
	v_add_f32_e32 v128, v128, v38
	v_fma_f32 v131, 0xbeb58ec6, v86, -v113
	v_dual_add_f32 v130, v39, v5 :: v_dual_add_f32 v5, v125, v36
	s_delay_alu instid0(VALU_DEP_4) | instskip(NEXT) | instid1(VALU_DEP_2)
	v_dual_add_f32 v38, v127, v37 :: v_dual_add_f32 v39, v129, v126
	v_dual_add_f32 v37, v132, v128 :: v_dual_add_f32 v36, v131, v130
	v_cmpx_gt_u32_e32 0x7e, v32
	s_cbranch_execz .LBB0_21
; %bb.20:
	v_mul_f32_e32 v125, 0xbe750f2a, v68
	v_mul_f32_e32 v130, 0x3eedf032, v71
	v_dual_mul_f32 v134, 0xbf29c268, v73 :: v_dual_mul_f32 v95, 0xbf29c268, v95
	v_dual_mul_f32 v136, 0x3f52af12, v76 :: v_dual_mul_f32 v97, 0x3f52af12, v97
	s_delay_alu instid0(VALU_DEP_3)
	v_fmamk_f32 v133, v74, 0x3f62ad3f, v130
	v_fma_f32 v74, 0x3f62ad3f, v74, -v130
	v_fmamk_f32 v126, v69, 0xbf788fa5, v125
	v_mul_f32_e32 v105, 0xbf6f5d39, v105
	v_dual_mul_f32 v139, 0x3f7e222b, v87 :: v_dual_mul_f32 v112, 0x3f7e222b, v112
	v_mul_f32_e32 v138, 0x3df6dbef, v67
	s_delay_alu instid0(VALU_DEP_4)
	v_add_f32_e32 v126, v13, v126
	v_fma_f32 v69, 0xbf788fa5, v69, -v125
	v_mul_f32_e32 v128, 0xbeedf032, v68
	v_mul_f32_e32 v77, 0xbe750f2a, v77
	v_fma_f32 v125, 0x3df6dbef, v86, -v112
	v_add_f32_e32 v126, v133, v126
	v_dual_add_f32 v69, v13, v69 :: v_dual_add_f32 v14, v12, v14
	s_delay_alu instid0(VALU_DEP_4) | instskip(SKIP_2) | instid1(VALU_DEP_4)
	v_fma_f32 v132, 0xbf788fa5, v67, -v77
	v_mul_f32_e32 v127, 0x3f62ad3f, v67
	v_fmac_f32_e32 v77, 0xbf788fa5, v67
	v_add_f32_e32 v69, v74, v69
	v_fma_f32 v74, 0xbf3f9e67, v85, -v134
	v_mul_f32_e32 v84, 0x3eedf032, v84
	v_add_f32_e32 v132, v12, v132
	v_add_f32_e32 v14, v14, v28
	v_mul_f32_e32 v130, 0xbeb58ec6, v67
	v_add_f32_e32 v15, v13, v15
	v_fma_f32 v135, 0x3f62ad3f, v70, -v84
	s_delay_alu instid0(VALU_DEP_4) | instskip(NEXT) | instid1(VALU_DEP_3)
	v_dual_mul_f32 v129, 0x3f116cb1, v67 :: v_dual_add_f32 v30, v14, v30
	v_dual_add_f32 v98, v130, v98 :: v_dual_add_f32 v15, v15, v29
	s_delay_alu instid0(VALU_DEP_3) | instskip(SKIP_1) | instid1(VALU_DEP_4)
	v_add_f32_e32 v132, v135, v132
	v_fma_f32 v135, 0xbf3f9e67, v72, -v95
	v_add_f32_e32 v46, v129, v46
	s_delay_alu instid0(VALU_DEP_4) | instskip(NEXT) | instid1(VALU_DEP_3)
	v_dual_add_f32 v24, v30, v24 :: v_dual_add_f32 v15, v15, v31
	v_add_f32_e32 v132, v135, v132
	v_fma_f32 v135, 0x3f116cb1, v75, -v97
	v_fmamk_f32 v133, v85, 0xbf3f9e67, v134
	v_dual_fmac_f32 v97, 0x3f116cb1, v75 :: v_dual_add_f32 v46, v12, v46
	v_add_f32_e32 v24, v24, v26
	s_delay_alu instid0(VALU_DEP_4) | instskip(SKIP_2) | instid1(VALU_DEP_4)
	v_add_f32_e32 v132, v135, v132
	v_fma_f32 v135, 0xbeb58ec6, v79, -v105
	v_dual_mul_f32 v131, 0xbf52af12, v68 :: v_dual_add_f32 v126, v133, v126
	v_dual_fmamk_f32 v133, v94, 0x3f116cb1, v136 :: v_dual_add_f32 v20, v24, v20
	s_delay_alu instid0(VALU_DEP_3) | instskip(SKIP_1) | instid1(VALU_DEP_3)
	v_add_f32_e32 v132, v135, v132
	v_mul_f32_e32 v137, 0xbf6f5d39, v80
	v_dual_fmamk_f32 v135, v102, 0x3df6dbef, v139 :: v_dual_add_f32 v126, v133, v126
	v_fma_f32 v102, 0x3df6dbef, v102, -v139
	s_delay_alu instid0(VALU_DEP_4) | instskip(NEXT) | instid1(VALU_DEP_4)
	v_add_f32_e32 v125, v125, v132
	v_fmamk_f32 v133, v96, 0xbeb58ec6, v137
	v_dual_mul_f32 v139, 0x3f29c268, v76 :: v_dual_sub_f32 v48, v48, v131
	v_dual_add_f32 v20, v20, v22 :: v_dual_add_f32 v15, v15, v25
	s_delay_alu instid0(VALU_DEP_3) | instskip(NEXT) | instid1(VALU_DEP_3)
	v_dual_add_f32 v126, v133, v126 :: v_dual_mul_f32 v133, 0xbf7e222b, v68
	v_dual_fmac_f32 v105, 0xbeb58ec6, v79 :: v_dual_add_f32 v48, v13, v48
	v_add_f32_e32 v25, v127, v41
	s_delay_alu instid0(VALU_DEP_3)
	v_dual_add_f32 v126, v135, v126 :: v_dual_mul_f32 v135, 0xbf3f9e67, v67
	v_add_f32_e32 v67, v74, v69
	v_fma_f32 v69, 0x3f116cb1, v94, -v136
	v_mul_f32_e32 v94, 0xbf788fa5, v70
	v_dual_mul_f32 v132, 0xbf6f5d39, v68 :: v_dual_add_f32 v77, v12, v77
	v_fmac_f32_e32 v84, 0x3f62ad3f, v70
	s_delay_alu instid0(VALU_DEP_4) | instskip(SKIP_2) | instid1(VALU_DEP_4)
	v_dual_mul_f32 v68, 0xbf29c268, v68 :: v_dual_add_f32 v67, v69, v67
	v_mul_f32_e32 v134, 0xbf52af12, v71
	v_fma_f32 v69, 0xbeb58ec6, v96, -v137
	v_dual_add_f32 v77, v84, v77 :: v_dual_mul_f32 v96, 0xbf3f9e67, v70
	v_dual_fmac_f32 v95, 0xbf3f9e67, v72 :: v_dual_add_f32 v114, v135, v114
	s_delay_alu instid0(VALU_DEP_3) | instskip(NEXT) | instid1(VALU_DEP_2)
	v_dual_mul_f32 v140, 0xbeb58ec6, v70 :: v_dual_add_f32 v67, v69, v67
	v_dual_mul_f32 v74, 0xbf6f5d39, v71 :: v_dual_add_f32 v69, v95, v77
	v_dual_mul_f32 v85, 0x3f116cb1, v70 :: v_dual_sub_f32 v68, v122, v68
	v_mul_f32_e32 v136, 0xbe750f2a, v71
	v_dual_mul_f32 v70, 0x3df6dbef, v70 :: v_dual_mul_f32 v137, 0x3df6dbef, v72
	s_delay_alu instid0(VALU_DEP_4) | instskip(NEXT) | instid1(VALU_DEP_4)
	v_dual_add_f32 v69, v97, v69 :: v_dual_mul_f32 v84, 0x3f29c268, v71
	v_dual_mul_f32 v71, 0x3f7e222b, v71 :: v_dual_add_f32 v68, v13, v68
	s_delay_alu instid0(VALU_DEP_3) | instskip(NEXT) | instid1(VALU_DEP_3)
	v_dual_mul_f32 v95, 0xbf788fa5, v72 :: v_dual_add_f32 v70, v70, v117
	v_add_f32_e32 v105, v105, v69
	s_delay_alu instid0(VALU_DEP_3)
	v_sub_f32_e32 v71, v123, v71
	v_dual_mul_f32 v123, 0xbf52af12, v73 :: v_dual_add_f32 v114, v12, v114
	v_mul_f32_e32 v77, 0xbf7e222b, v73
	v_mul_f32_e32 v122, 0xbe750f2a, v73
	;; [unrolled: 1-line block ×3, first 2 shown]
	v_add_f32_e32 v68, v71, v68
	v_dual_add_f32 v70, v70, v114 :: v_dual_sub_f32 v123, v124, v123
	v_mul_f32_e32 v69, 0x3e750f2a, v76
	v_mul_f32_e32 v124, 0x3f62ad3f, v72
	;; [unrolled: 1-line block ×3, first 2 shown]
	s_delay_alu instid0(VALU_DEP_4) | instskip(SKIP_1) | instid1(VALU_DEP_3)
	v_dual_mul_f32 v71, 0x3f6f5d39, v73 :: v_dual_add_f32 v68, v123, v68
	v_mul_f32_e32 v73, 0x3eedf032, v73
	v_dual_mul_f32 v117, 0xbf3f9e67, v75 :: v_dual_add_f32 v72, v72, v118
	v_dual_sub_f32 v69, v120, v69 :: v_dual_mul_f32 v120, 0x3eedf032, v80
	v_mul_f32_e32 v114, 0x3eedf032, v76
	v_sub_f32_e32 v84, v108, v84
	v_mul_f32_e32 v135, 0xbf6f5d39, v76
	s_delay_alu instid0(VALU_DEP_4) | instskip(SKIP_3) | instid1(VALU_DEP_3)
	v_add_f32_e32 v68, v69, v68
	v_dual_sub_f32 v69, v121, v120 :: v_dual_mul_f32 v120, 0x3f62ad3f, v75
	v_mul_f32_e32 v123, 0xbeb58ec6, v75
	v_dual_sub_f32 v73, v109, v73 :: v_dual_add_f32 v96, v96, v103
	v_dual_mul_f32 v103, 0x3f116cb1, v86 :: v_dual_add_f32 v68, v69, v68
	v_dual_add_f32 v69, v72, v70 :: v_dual_sub_f32 v72, v106, v132
	v_mul_f32_e32 v118, 0x3df6dbef, v75
	v_mul_f32_e32 v75, 0xbf788fa5, v75
	v_mul_f32_e32 v121, 0xbf3f9e67, v79
	v_mul_f32_e32 v76, 0xbf7e222b, v76
	v_add_f32_e32 v72, v13, v72
	s_delay_alu instid0(VALU_DEP_4) | instskip(SKIP_1) | instid1(VALU_DEP_4)
	v_dual_mul_f32 v70, 0xbf29c268, v80 :: v_dual_add_f32 v75, v75, v115
	v_mul_f32_e32 v115, 0x3f62ad3f, v79
	v_dual_mul_f32 v109, 0xbf788fa5, v86 :: v_dual_sub_f32 v76, v110, v76
	s_delay_alu instid0(VALU_DEP_4) | instskip(NEXT) | instid1(VALU_DEP_3)
	v_add_f32_e32 v72, v84, v72
	v_dual_mul_f32 v106, 0x3df6dbef, v79 :: v_dual_add_f32 v115, v115, v116
	v_dual_add_f32 v69, v75, v69 :: v_dual_mul_f32 v84, 0xbf6f5d39, v87
	v_mul_f32_e32 v75, 0x3f116cb1, v79
	s_delay_alu instid0(VALU_DEP_4) | instskip(NEXT) | instid1(VALU_DEP_3)
	v_dual_mul_f32 v79, 0xbf788fa5, v79 :: v_dual_add_f32 v72, v73, v72
	v_dual_mul_f32 v108, 0x3f7e222b, v80 :: v_dual_add_f32 v115, v115, v69
	;; [unrolled: 1-line block ×3, first 2 shown]
	v_dual_sub_f32 v84, v119, v84 :: v_dual_mul_f32 v119, 0xbe750f2a, v87
	v_mul_f32_e32 v132, 0x3f62ad3f, v86
	v_dual_mul_f32 v110, 0xbf3f9e67, v86 :: v_dual_sub_f32 v71, v88, v71
	v_dual_mul_f32 v130, 0xbf29c268, v87 :: v_dual_add_f32 v79, v79, v100
	v_fmac_f32_e32 v112, 0x3df6dbef, v86
	v_mul_f32_e32 v86, 0xbeb58ec6, v86
	v_mul_f32_e32 v73, 0x3eedf032, v87
	v_dual_mul_f32 v87, 0x3f52af12, v87 :: v_dual_add_f32 v72, v76, v72
	v_mul_f32_e32 v80, 0x3e750f2a, v80
	v_sub_f32_e32 v56, v56, v74
	v_add_f32_e32 v69, v84, v68
	s_delay_alu instid0(VALU_DEP_4) | instskip(NEXT) | instid1(VALU_DEP_4)
	v_dual_add_f32 v68, v12, v98 :: v_dual_sub_f32 v87, v111, v87
	v_sub_f32_e32 v76, v107, v80
	s_delay_alu instid0(VALU_DEP_4) | instskip(SKIP_2) | instid1(VALU_DEP_4)
	v_add_f32_e32 v48, v56, v48
	v_sub_f32_e32 v56, v63, v122
	v_dual_add_f32 v63, v110, v78 :: v_dual_sub_f32 v80, v92, v133
	v_add_f32_e32 v72, v76, v72
	v_dual_add_f32 v51, v140, v51 :: v_dual_add_f32 v84, v86, v113
	v_add_f32_e32 v86, v96, v68
	s_delay_alu instid0(VALU_DEP_4) | instskip(SKIP_1) | instid1(VALU_DEP_4)
	v_add_f32_e32 v76, v13, v80
	v_add_f32_e32 v52, v138, v52
	;; [unrolled: 1-line block ×3, first 2 shown]
	v_dual_add_f32 v51, v95, v57 :: v_dual_add_f32 v92, v124, v99
	v_sub_f32_e32 v80, v93, v136
	v_sub_f32_e32 v28, v65, v73
	v_dual_add_f32 v60, v94, v60 :: v_dual_add_f32 v15, v15, v27
	s_delay_alu instid0(VALU_DEP_4) | instskip(SKIP_1) | instid1(VALU_DEP_3)
	v_dual_add_f32 v46, v51, v46 :: v_dual_add_f32 v51, v117, v55
	v_add_f32_e32 v68, v84, v115
	v_dual_add_f32 v84, v92, v86 :: v_dual_add_f32 v15, v15, v21
	v_sub_f32_e32 v21, v47, v77
	s_delay_alu instid0(VALU_DEP_4) | instskip(SKIP_1) | instid1(VALU_DEP_4)
	v_add_f32_e32 v29, v51, v46
	v_add_f32_e32 v46, v106, v58
	v_dual_add_f32 v76, v80, v76 :: v_dual_add_f32 v15, v15, v23
	v_add_f32_e32 v24, v137, v45
	s_delay_alu instid0(VALU_DEP_3) | instskip(SKIP_1) | instid1(VALU_DEP_4)
	v_dual_add_f32 v16, v20, v16 :: v_dual_add_f32 v29, v46, v29
	v_add_f32_e32 v48, v56, v48
	v_dual_sub_f32 v56, v64, v139 :: v_dual_add_f32 v71, v71, v76
	v_add_f32_e32 v15, v15, v17
	s_delay_alu instid0(VALU_DEP_4) | instskip(NEXT) | instid1(VALU_DEP_3)
	v_dual_add_f32 v17, v123, v49 :: v_dual_add_f32 v16, v16, v18
	v_add_f32_e32 v48, v56, v48
	s_delay_alu instid0(VALU_DEP_3) | instskip(SKIP_1) | instid1(VALU_DEP_4)
	v_dual_sub_f32 v56, v66, v108 :: v_dual_add_f32 v15, v15, v19
	v_sub_f32_e32 v20, v54, v70
	v_add_f32_e32 v8, v16, v8
	v_add_f32_e32 v16, v109, v59
	s_delay_alu instid0(VALU_DEP_4) | instskip(NEXT) | instid1(VALU_DEP_3)
	v_dual_add_f32 v48, v56, v48 :: v_dual_add_f32 v9, v15, v9
	v_dual_sub_f32 v15, v61, v119 :: v_dual_add_f32 v10, v8, v10
	v_add_f32_e32 v66, v112, v105
	s_delay_alu instid0(VALU_DEP_3) | instskip(NEXT) | instid1(VALU_DEP_4)
	v_add_f32_e32 v14, v28, v48
	v_dual_sub_f32 v28, v42, v128 :: v_dual_add_f32 v11, v9, v11
	s_delay_alu instid0(VALU_DEP_4) | instskip(SKIP_1) | instid1(VALU_DEP_3)
	v_add_f32_e32 v2, v10, v2
	v_mad_u32_u24 v10, 0x60, v32, v40
	v_dual_add_f32 v13, v13, v28 :: v_dual_sub_f32 v28, v44, v134
	s_delay_alu instid0(VALU_DEP_4) | instskip(NEXT) | instid1(VALU_DEP_2)
	v_dual_sub_f32 v76, v89, v114 :: v_dual_add_f32 v3, v11, v3
	v_add_f32_e32 v13, v28, v13
	s_delay_alu instid0(VALU_DEP_2) | instskip(SKIP_1) | instid1(VALU_DEP_3)
	v_dual_add_f32 v71, v76, v71 :: v_dual_sub_f32 v76, v90, v116
	v_add_f32_e32 v86, v118, v101
	v_add_f32_e32 v13, v21, v13
	v_sub_f32_e32 v21, v50, v135
	s_delay_alu instid0(VALU_DEP_3) | instskip(SKIP_4) | instid1(VALU_DEP_4)
	v_dual_add_f32 v71, v76, v71 :: v_dual_add_f32 v80, v86, v84
	v_add_f32_e32 v84, v12, v52
	v_add_f32_e32 v52, v87, v72
	v_add_f32_e32 v72, v97, v83
	v_dual_add_f32 v12, v12, v25 :: v_dual_add_f32 v25, v85, v43
	v_add_f32_e32 v60, v60, v84
	v_add_f32_e32 v79, v79, v80
	v_dual_add_f32 v80, v103, v104 :: v_dual_add_f32 v13, v21, v13
	s_delay_alu instid0(VALU_DEP_4) | instskip(NEXT) | instid1(VALU_DEP_4)
	v_add_f32_e32 v12, v25, v12
	v_add_f32_e32 v60, v72, v60
	;; [unrolled: 1-line block ×3, first 2 shown]
	s_delay_alu instid0(VALU_DEP_4) | instskip(NEXT) | instid1(VALU_DEP_4)
	v_dual_sub_f32 v74, v91, v130 :: v_dual_add_f32 v13, v20, v13
	v_add_f32_e32 v12, v24, v12
	v_add_f32_e32 v51, v80, v79
	s_delay_alu instid0(VALU_DEP_4) | instskip(SKIP_4) | instid1(VALU_DEP_4)
	v_add_f32_e32 v60, v72, v60
	v_add_f32_e32 v72, v75, v82
	;; [unrolled: 1-line block ×5, first 2 shown]
	v_dual_add_f32 v9, v15, v13 :: v_dual_add_f32 v60, v72, v60
	s_delay_alu instid0(VALU_DEP_2) | instskip(NEXT) | instid1(VALU_DEP_2)
	v_dual_add_f32 v12, v17, v12 :: v_dual_add_f32 v17, v132, v62
	v_add_f32_e32 v63, v63, v60
	s_delay_alu instid0(VALU_DEP_2)
	v_dual_add_f32 v8, v16, v12 :: v_dual_add_f32 v13, v17, v29
	ds_store_2addr_b64 v10, v[2:3], v[8:9] offset1:1
	ds_store_2addr_b64 v10, v[13:14], v[63:64] offset0:2 offset1:3
	ds_store_2addr_b64 v10, v[51:52], v[68:69] offset0:4 offset1:5
	;; [unrolled: 1-line block ×5, first 2 shown]
	ds_store_b64 v10, v[0:1] offset:96
.LBB0_21:
	s_wait_alu 0xfffe
	s_or_b32 exec_lo, exec_lo, s2
	v_add_nc_u32_e32 v2, 0x1800, v40
	v_add_nc_u32_e32 v3, 0xa00, v40
	global_wb scope:SCOPE_SE
	s_wait_dscnt 0x0
	s_barrier_signal -1
	s_barrier_wait -1
	global_inv scope:SCOPE_SE
	ds_load_2addr_b64 v[12:15], v40 offset1:182
	ds_load_2addr_b64 v[20:23], v2 offset0:51 offset1:233
	ds_load_2addr_b64 v[8:11], v3 offset0:44 offset1:226
	;; [unrolled: 1-line block ×3, first 2 shown]
	s_and_saveexec_b32 s1, s0
	s_cbranch_execz .LBB0_23
; %bb.22:
	ds_load_b64 v[36:37], v40 offset:5824
	ds_load_b64 v[38:39], v40 offset:12376
.LBB0_23:
	s_wait_alu 0xfffe
	s_or_b32 exec_lo, exec_lo, s1
	v_and_b32_e32 v2, 0xff, v32
	v_add_nc_u32_e32 v31, 0xb6, v32
	v_add_nc_u32_e32 v30, 0x16c, v32
	;; [unrolled: 1-line block ×4, first 2 shown]
	v_mul_lo_u16 v2, 0x4f, v2
	v_and_b32_e32 v3, 0xffff, v31
	v_and_b32_e32 v25, 0xffff, v30
	;; [unrolled: 1-line block ×4, first 2 shown]
	v_lshrrev_b16 v29, 10, v2
	v_mul_u32_u24_e32 v24, 0x4ec5, v3
	v_mul_u32_u24_e32 v3, 0x4ec5, v25
	;; [unrolled: 1-line block ×4, first 2 shown]
	v_mul_lo_u16 v25, v29, 13
	v_lshrrev_b32_e32 v49, 18, v24
	v_lshrrev_b32_e32 v50, 18, v3
	;; [unrolled: 1-line block ×3, first 2 shown]
	v_and_b32_e32 v29, 0xffff, v29
	v_sub_nc_u16 v41, v32, v25
	v_mul_lo_u16 v28, v49, 13
	v_lshrrev_b32_e32 v25, 18, v33
	v_mul_lo_u16 v33, v50, 13
	v_mul_lo_u16 v42, v51, 13
	v_and_b32_e32 v41, 0xff, v41
	v_sub_nc_u16 v28, v31, v28
	v_mul_lo_u16 v43, v25, 13
	v_sub_nc_u16 v33, v30, v33
	v_mul_u32_u24_e32 v29, 0xd0, v29
	v_lshlrev_b32_e32 v52, 3, v41
	v_sub_nc_u16 v41, v26, v42
	v_and_b32_e32 v28, 0xffff, v28
	v_sub_nc_u16 v42, v27, v43
	v_and_b32_e32 v33, 0xffff, v33
	global_load_b64 v[26:27], v52, s[4:5]
	v_and_b32_e32 v41, 0xffff, v41
	v_lshlrev_b32_e32 v53, 3, v28
	v_and_b32_e32 v28, 0xffff, v42
	v_lshlrev_b32_e32 v33, 3, v33
	v_mul_u32_u24_e32 v50, 0xd0, v50
	v_lshlrev_b32_e32 v54, 3, v41
	global_load_b64 v[41:42], v53, s[4:5]
	v_lshlrev_b32_e32 v28, 3, v28
	s_clause 0x2
	global_load_b64 v[43:44], v33, s[4:5]
	global_load_b64 v[45:46], v54, s[4:5]
	;; [unrolled: 1-line block ×3, first 2 shown]
	v_mul_u32_u24_e32 v51, 0xd0, v51
	v_add3_u32 v33, 0, v50, v33
	v_mul_u32_u24_e32 v49, 0xd0, v49
	global_wb scope:SCOPE_SE
	s_wait_loadcnt_dscnt 0x0
	s_barrier_signal -1
	v_add3_u32 v50, 0, v51, v54
	s_barrier_wait -1
	global_inv scope:SCOPE_SE
	v_mul_f32_e32 v51, v39, v48
	v_add3_u32 v29, 0, v29, v52
	v_mul_f32_e32 v52, v27, v21
	v_mul_f32_e32 v27, v27, v20
	;; [unrolled: 1-line block ×3, first 2 shown]
	v_fmac_f32_e32 v51, v38, v47
	s_delay_alu instid0(VALU_DEP_4) | instskip(NEXT) | instid1(VALU_DEP_4)
	v_fmac_f32_e32 v52, v26, v20
	v_fma_f32 v20, v26, v21, -v27
	v_mul_f32_e32 v21, v42, v23
	v_dual_mul_f32 v26, v42, v22 :: v_dual_mul_f32 v27, v44, v17
	v_mul_f32_e32 v42, v44, v16
	v_mul_f32_e32 v44, v46, v19
	;; [unrolled: 1-line block ×3, first 2 shown]
	v_fmac_f32_e32 v21, v41, v22
	v_fma_f32 v22, v41, v23, -v26
	v_fmac_f32_e32 v27, v43, v16
	v_fma_f32 v23, v43, v17, -v42
	v_fmac_f32_e32 v44, v45, v18
	v_fma_f32 v26, v45, v19, -v46
	v_dual_sub_f32 v19, v15, v22 :: v_dual_sub_f32 v16, v12, v52
	v_sub_f32_e32 v17, v13, v20
	v_fma_f32 v38, v39, v47, -v48
	v_sub_f32_e32 v18, v14, v21
	v_sub_f32_e32 v20, v8, v27
	v_dual_sub_f32 v21, v9, v23 :: v_dual_sub_f32 v22, v10, v44
	v_dual_sub_f32 v23, v11, v26 :: v_dual_sub_f32 v26, v36, v51
	v_fma_f32 v12, v12, 2.0, -v16
	v_fma_f32 v13, v13, 2.0, -v17
	v_sub_f32_e32 v27, v37, v38
	v_add3_u32 v49, 0, v49, v53
	v_fma_f32 v14, v14, 2.0, -v18
	v_fma_f32 v15, v15, 2.0, -v19
	;; [unrolled: 1-line block ×6, first 2 shown]
	ds_store_2addr_b64 v29, v[12:13], v[16:17] offset1:13
	ds_store_2addr_b64 v49, v[14:15], v[18:19] offset1:13
	;; [unrolled: 1-line block ×4, first 2 shown]
	s_and_saveexec_b32 s1, s0
	s_cbranch_execz .LBB0_25
; %bb.24:
	v_mul_lo_u16 v8, v25, 26
	v_fma_f32 v9, v37, 2.0, -v27
	s_delay_alu instid0(VALU_DEP_2) | instskip(NEXT) | instid1(VALU_DEP_1)
	v_and_b32_e32 v8, 0xffff, v8
	v_lshlrev_b32_e32 v10, 3, v8
	v_fma_f32 v8, v36, 2.0, -v26
	s_delay_alu instid0(VALU_DEP_2)
	v_add3_u32 v10, 0, v28, v10
	ds_store_2addr_b64 v10, v[8:9], v[26:27] offset1:13
.LBB0_25:
	s_wait_alu 0xfffe
	s_or_b32 exec_lo, exec_lo, s1
	v_lshrrev_b16 v25, 11, v2
	v_lshrrev_b32_e32 v24, 19, v24
	v_lshrrev_b32_e32 v28, 19, v3
	global_wb scope:SCOPE_SE
	s_wait_dscnt 0x0
	s_barrier_signal -1
	v_mul_lo_u16 v2, v25, 26
	v_mul_lo_u16 v3, v24, 26
	;; [unrolled: 1-line block ×3, first 2 shown]
	s_barrier_wait -1
	global_inv scope:SCOPE_SE
	v_sub_nc_u16 v2, v32, v2
	v_sub_nc_u16 v3, v31, v3
	v_add_nc_u32_e32 v41, 0x2000, v40
	v_add_nc_u32_e32 v45, 0x1600, v40
	v_mul_u32_u24_e32 v24, 0x270, v24
	v_and_b32_e32 v29, 0xff, v2
	v_sub_nc_u16 v2, v30, v8
	v_and_b32_e32 v33, 0xffff, v3
	v_mul_u32_u24_e32 v28, 0x270, v28
	v_cmp_gt_u32_e64 s0, 52, v32
	v_lshlrev_b32_e32 v3, 4, v29
	v_and_b32_e32 v49, 0xffff, v2
	global_load_b128 v[12:15], v3, s[4:5] offset:104
	v_lshlrev_b32_e32 v2, 4, v33
	v_lshlrev_b32_e32 v3, 4, v49
	s_clause 0x1
	global_load_b128 v[16:19], v2, s[4:5] offset:104
	global_load_b128 v[20:23], v3, s[4:5] offset:104
	v_add_nc_u32_e32 v2, 0xa00, v40
	ds_load_2addr_b64 v[36:39], v40 offset1:182
	ds_load_2addr_b64 v[8:11], v2 offset0:44 offset1:226
	ds_load_b64 v[2:3], v40 offset:11648
	ds_load_2addr_b64 v[41:44], v41 offset0:68 offset1:250
	ds_load_2addr_b64 v[45:48], v45 offset0:24 offset1:206
	v_add_nc_u32_e32 v50, 0xe00, v40
	global_wb scope:SCOPE_SE
	s_wait_loadcnt_dscnt 0x0
	s_barrier_signal -1
	s_barrier_wait -1
	global_inv scope:SCOPE_SE
	v_mul_f32_e32 v52, v19, v44
	v_dual_mul_f32 v53, v21, v48 :: v_dual_mul_f32 v54, v3, v23
	s_delay_alu instid0(VALU_DEP_2) | instskip(NEXT) | instid1(VALU_DEP_2)
	v_dual_fmac_f32 v52, v18, v43 :: v_dual_lshlrev_b32 v29, 3, v29
	v_dual_fmac_f32 v53, v20, v47 :: v_dual_fmac_f32 v54, v2, v22
	v_lshlrev_b32_e32 v33, 3, v33
	v_lshlrev_b32_e32 v49, 3, v49
	s_delay_alu instid0(VALU_DEP_2) | instskip(SKIP_1) | instid1(VALU_DEP_3)
	v_add3_u32 v24, 0, v24, v33
	v_mul_f32_e32 v33, v15, v42
	v_add3_u32 v28, 0, v28, v49
	s_delay_alu instid0(VALU_DEP_2) | instskip(SKIP_2) | instid1(VALU_DEP_2)
	v_fmac_f32_e32 v33, v14, v41
	v_mul_f32_e32 v49, v17, v46
	v_mul_f32_e32 v17, v17, v45
	v_fmac_f32_e32 v49, v16, v45
	v_and_b32_e32 v25, 0xffff, v25
	v_mul_f32_e32 v19, v19, v43
	s_delay_alu instid0(VALU_DEP_2) | instskip(NEXT) | instid1(VALU_DEP_1)
	v_mul_u32_u24_e32 v25, 0x270, v25
	v_add3_u32 v25, 0, v25, v29
	v_mul_f32_e32 v29, v13, v11
	v_mul_f32_e32 v13, v13, v10
	s_delay_alu instid0(VALU_DEP_2) | instskip(NEXT) | instid1(VALU_DEP_2)
	v_fmac_f32_e32 v29, v12, v10
	v_fma_f32 v10, v12, v11, -v13
	v_fma_f32 v12, v16, v46, -v17
	v_add_f32_e32 v16, v38, v49
	v_mul_f32_e32 v15, v15, v41
	v_add_f32_e32 v41, v8, v53
	s_delay_alu instid0(VALU_DEP_2) | instskip(SKIP_2) | instid1(VALU_DEP_3)
	v_fma_f32 v11, v14, v42, -v15
	v_add_f32_e32 v42, v53, v54
	v_fma_f32 v15, v18, v44, -v19
	v_dual_add_f32 v14, v37, v10 :: v_dual_sub_f32 v19, v10, v11
	s_delay_alu instid0(VALU_DEP_3) | instskip(SKIP_2) | instid1(VALU_DEP_2)
	v_fma_f32 v8, -0.5, v42, v8
	v_mul_f32_e32 v21, v21, v47
	v_add_f32_e32 v10, v10, v11
	v_fma_f32 v13, v20, v48, -v21
	v_mul_f32_e32 v23, v2, v23
	s_delay_alu instid0(VALU_DEP_2) | instskip(NEXT) | instid1(VALU_DEP_2)
	v_dual_sub_f32 v21, v12, v15 :: v_dual_add_f32 v44, v9, v13
	v_fma_f32 v17, v3, v22, -v23
	v_dual_add_f32 v3, v29, v33 :: v_dual_add_f32 v22, v39, v12
	v_add_f32_e32 v23, v12, v15
	s_delay_alu instid0(VALU_DEP_3) | instskip(SKIP_3) | instid1(VALU_DEP_4)
	v_sub_f32_e32 v43, v13, v17
	v_add_f32_e32 v45, v13, v17
	v_fma_f32 v13, -0.5, v10, v37
	v_fma_f32 v12, -0.5, v3, v36
	v_dual_add_f32 v3, v14, v11 :: v_dual_fmamk_f32 v10, v43, 0xbf5db3d7, v8
	v_fmac_f32_e32 v8, 0x3f5db3d7, v43
	v_add_f32_e32 v18, v49, v52
	v_add_f32_e32 v14, v16, v52
	v_dual_add_f32 v16, v41, v54 :: v_dual_add_nc_u32 v51, 0x1d00, v40
	v_sub_f32_e32 v20, v29, v33
	s_delay_alu instid0(VALU_DEP_4)
	v_fma_f32 v38, -0.5, v18, v38
	v_fmamk_f32 v18, v19, 0xbf5db3d7, v12
	v_fmac_f32_e32 v12, 0x3f5db3d7, v19
	v_fmac_f32_e32 v39, -0.5, v23
	v_fmamk_f32 v19, v20, 0x3f5db3d7, v13
	v_dual_fmac_f32 v13, 0xbf5db3d7, v20 :: v_dual_fmamk_f32 v20, v21, 0xbf5db3d7, v38
	v_dual_add_f32 v2, v36, v29 :: v_dual_sub_f32 v29, v49, v52
	v_fmac_f32_e32 v9, -0.5, v45
	v_fmac_f32_e32 v38, 0x3f5db3d7, v21
	v_sub_f32_e32 v46, v53, v54
	s_delay_alu instid0(VALU_DEP_4)
	v_add_f32_e32 v2, v2, v33
	v_add_f32_e32 v15, v22, v15
	v_fmamk_f32 v21, v29, 0x3f5db3d7, v39
	v_fmac_f32_e32 v39, 0xbf5db3d7, v29
	v_add_f32_e32 v17, v44, v17
	v_fmamk_f32 v11, v46, 0x3f5db3d7, v9
	v_fmac_f32_e32 v9, 0xbf5db3d7, v46
	ds_store_2addr_b64 v25, v[2:3], v[18:19] offset1:26
	ds_store_b64 v25, v[12:13] offset:416
	ds_store_2addr_b64 v24, v[14:15], v[20:21] offset1:26
	ds_store_b64 v24, v[38:39] offset:416
	;; [unrolled: 2-line block ×3, first 2 shown]
	global_wb scope:SCOPE_SE
	s_wait_dscnt 0x0
	s_barrier_signal -1
	s_barrier_wait -1
	global_inv scope:SCOPE_SE
	ds_load_2addr_b64 v[14:17], v40 offset1:234
	ds_load_2addr_b64 v[22:25], v50 offset0:20 offset1:254
	ds_load_2addr_b64 v[18:21], v51 offset0:8 offset1:242
	ds_load_b64 v[28:29], v40 offset:11232
	s_and_saveexec_b32 s1, s0
	s_cbranch_execz .LBB0_27
; %bb.26:
	v_add_nc_u32_e32 v0, 0x580, v40
	v_add_nc_u32_e32 v2, 0x1b00, v40
	ds_load_2addr_b64 v[10:13], v0 offset0:6 offset1:240
	v_add_nc_u32_e32 v1, 0x1400, v40
	v_add_nc_u32_e32 v0, 0x2a00, v40
	s_wait_dscnt 0x0
	v_mov_b32_e32 v8, v12
	ds_load_2addr_b32 v[26:27], v1 offset0:20 offset1:21
	ds_load_2addr_b64 v[4:7], v2 offset0:20 offset1:254
	ds_load_2addr_b64 v[0:3], v0 offset0:8 offset1:242
	v_mov_b32_e32 v9, v13
.LBB0_27:
	s_wait_alu 0xfffe
	s_or_b32 exec_lo, exec_lo, s1
	v_lshrrev_b16 v12, 1, v32
	s_delay_alu instid0(VALU_DEP_1) | instskip(NEXT) | instid1(VALU_DEP_1)
	v_and_b32_e32 v12, 0x7f, v12
	v_mul_lo_u16 v12, 0xd3, v12
	s_delay_alu instid0(VALU_DEP_1) | instskip(NEXT) | instid1(VALU_DEP_1)
	v_lshrrev_b16 v12, 13, v12
	v_mul_lo_u16 v13, 0x4e, v12
	s_delay_alu instid0(VALU_DEP_1) | instskip(NEXT) | instid1(VALU_DEP_1)
	v_sub_nc_u16 v13, v32, v13
	v_and_b32_e32 v13, 0xff, v13
	s_delay_alu instid0(VALU_DEP_1) | instskip(NEXT) | instid1(VALU_DEP_1)
	v_mul_u32_u24_e32 v33, 6, v13
	v_lshlrev_b32_e32 v33, 3, v33
	s_clause 0x2
	global_load_b128 v[36:39], v33, s[4:5] offset:520
	global_load_b128 v[41:44], v33, s[4:5] offset:536
	;; [unrolled: 1-line block ×3, first 2 shown]
	v_and_b32_e32 v12, 0xffff, v12
	global_wb scope:SCOPE_SE
	s_wait_loadcnt_dscnt 0x0
	s_barrier_signal -1
	s_barrier_wait -1
	global_inv scope:SCOPE_SE
	v_mul_u32_u24_e32 v12, 0x1110, v12
	v_mul_f32_e32 v50, v42, v25
	v_dual_mul_f32 v42, v42, v24 :: v_dual_lshlrev_b32 v13, 3, v13
	v_mul_f32_e32 v53, v48, v29
	v_dual_mul_f32 v52, v46, v21 :: v_dual_mul_f32 v51, v44, v19
	v_mul_f32_e32 v46, v46, v20
	s_delay_alu instid0(VALU_DEP_4) | instskip(SKIP_3) | instid1(VALU_DEP_3)
	v_add3_u32 v33, 0, v12, v13
	v_mul_f32_e32 v12, v37, v17
	v_mul_f32_e32 v44, v44, v18
	v_dual_mul_f32 v48, v48, v28 :: v_dual_fmac_f32 v51, v43, v18
	v_dual_fmac_f32 v12, v36, v16 :: v_dual_add_nc_u32 v49, 0x800, v33
	v_fmac_f32_e32 v50, v41, v24
	v_fmac_f32_e32 v53, v47, v28
	v_mul_f32_e32 v13, v37, v16
	v_mul_f32_e32 v37, v39, v23
	;; [unrolled: 1-line block ×3, first 2 shown]
	v_fma_f32 v18, v47, v29, -v48
	v_fma_f32 v19, v43, v19, -v44
	v_sub_f32_e32 v28, v51, v50
	v_fmac_f32_e32 v37, v38, v22
	v_fma_f32 v16, v38, v23, -v39
	v_fmac_f32_e32 v52, v45, v20
	v_fma_f32 v20, v45, v21, -v46
	v_add_f32_e32 v21, v12, v53
	v_sub_f32_e32 v12, v12, v53
	v_fma_f32 v13, v36, v17, -v13
	v_fma_f32 v17, v41, v25, -v42
	v_add_f32_e32 v23, v16, v20
	v_sub_f32_e32 v16, v16, v20
	s_delay_alu instid0(VALU_DEP_4) | instskip(SKIP_3) | instid1(VALU_DEP_4)
	v_add_f32_e32 v22, v13, v18
	v_sub_f32_e32 v13, v13, v18
	v_add_f32_e32 v18, v37, v52
	v_sub_f32_e32 v24, v37, v52
	v_dual_add_f32 v20, v50, v51 :: v_dual_add_f32 v29, v23, v22
	v_add_f32_e32 v25, v17, v19
	v_sub_f32_e32 v17, v19, v17
	v_add_f32_e32 v19, v18, v21
	v_dual_sub_f32 v36, v18, v21 :: v_dual_sub_f32 v37, v23, v22
	s_delay_alu instid0(VALU_DEP_4)
	v_dual_sub_f32 v21, v21, v20 :: v_dual_sub_f32 v22, v22, v25
	v_dual_sub_f32 v18, v20, v18 :: v_dual_sub_f32 v23, v25, v23
	v_add_f32_e32 v38, v28, v24
	v_add_f32_e32 v39, v17, v16
	v_sub_f32_e32 v41, v28, v24
	v_dual_sub_f32 v42, v17, v16 :: v_dual_add_f32 v19, v20, v19
	v_dual_sub_f32 v24, v24, v12 :: v_dual_mul_f32 v21, 0x3f4a47b2, v21
	v_sub_f32_e32 v16, v16, v13
	v_add_f32_e32 v20, v25, v29
	v_dual_sub_f32 v28, v12, v28 :: v_dual_add_f32 v29, v39, v13
	v_sub_f32_e32 v17, v13, v17
	v_dual_add_f32 v25, v38, v12 :: v_dual_mul_f32 v22, 0x3f4a47b2, v22
	v_dual_mul_f32 v38, 0x3d64c772, v18 :: v_dual_mul_f32 v39, 0x3d64c772, v23
	v_dual_mul_f32 v41, 0x3f08b237, v41 :: v_dual_mul_f32 v42, 0x3f08b237, v42
	v_dual_mul_f32 v43, 0xbf5ff5aa, v24 :: v_dual_add_f32 v12, v19, v14
	v_dual_mul_f32 v44, 0xbf5ff5aa, v16 :: v_dual_add_f32 v13, v20, v15
	v_dual_fmamk_f32 v14, v18, 0x3d64c772, v21 :: v_dual_fmamk_f32 v15, v23, 0x3d64c772, v22
	v_fma_f32 v18, 0x3f3bfb3b, v36, -v38
	v_fma_f32 v23, 0x3f3bfb3b, v37, -v39
	;; [unrolled: 1-line block ×4, first 2 shown]
	v_dual_fmamk_f32 v36, v28, 0xbeae86e6, v41 :: v_dual_fmamk_f32 v37, v17, 0xbeae86e6, v42
	v_fma_f32 v24, 0xbf5ff5aa, v24, -v41
	v_fma_f32 v38, 0xbf5ff5aa, v16, -v42
	;; [unrolled: 1-line block ×4, first 2 shown]
	v_dual_fmamk_f32 v16, v19, 0xbf955555, v12 :: v_dual_fmamk_f32 v17, v20, 0xbf955555, v13
	v_fmac_f32_e32 v36, 0xbee1c552, v25
	v_fmac_f32_e32 v37, 0xbee1c552, v29
	s_delay_alu instid0(VALU_DEP_3) | instskip(NEXT) | instid1(VALU_DEP_4)
	v_dual_fmac_f32 v24, 0xbee1c552, v25 :: v_dual_add_f32 v41, v21, v16
	v_dual_add_f32 v20, v18, v16 :: v_dual_add_f32 v21, v23, v17
	v_dual_fmac_f32 v28, 0xbee1c552, v25 :: v_dual_add_f32 v25, v14, v16
	v_fmac_f32_e32 v38, 0xbee1c552, v29
	v_fmac_f32_e32 v39, 0xbee1c552, v29
	v_add_f32_e32 v29, v15, v17
	s_delay_alu instid0(VALU_DEP_1) | instskip(NEXT) | instid1(VALU_DEP_4)
	v_dual_add_f32 v42, v22, v17 :: v_dual_sub_f32 v15, v29, v36
	v_sub_f32_e32 v18, v20, v38
	v_add_f32_e32 v20, v38, v20
	v_dual_sub_f32 v22, v41, v39 :: v_dual_add_f32 v19, v24, v21
	v_sub_f32_e32 v21, v21, v24
	v_dual_add_f32 v14, v37, v25 :: v_dual_sub_f32 v17, v42, v28
	v_dual_add_f32 v16, v39, v41 :: v_dual_add_f32 v23, v28, v42
	v_sub_f32_e32 v24, v25, v37
	v_add_f32_e32 v25, v36, v29
	ds_store_2addr_b64 v33, v[12:13], v[14:15] offset1:78
	ds_store_2addr_b64 v33, v[16:17], v[18:19] offset0:156 offset1:234
	ds_store_2addr_b64 v49, v[20:21], v[22:23] offset0:56 offset1:134
	ds_store_b64 v33, v[24:25] offset:3744
	s_and_saveexec_b32 s1, s0
	s_cbranch_execz .LBB0_29
; %bb.28:
	v_lshrrev_b16 v12, 1, v31
	s_delay_alu instid0(VALU_DEP_1) | instskip(NEXT) | instid1(VALU_DEP_1)
	v_and_b32_e32 v12, 0xffff, v12
	v_mul_u32_u24_e32 v12, 0x6907, v12
	s_delay_alu instid0(VALU_DEP_1) | instskip(NEXT) | instid1(VALU_DEP_1)
	v_lshrrev_b32_e32 v12, 20, v12
	v_mul_lo_u16 v12, 0x4e, v12
	s_delay_alu instid0(VALU_DEP_1) | instskip(NEXT) | instid1(VALU_DEP_1)
	v_sub_nc_u16 v12, v31, v12
	v_and_b32_e32 v24, 0xffff, v12
	s_delay_alu instid0(VALU_DEP_1) | instskip(NEXT) | instid1(VALU_DEP_1)
	v_mul_u32_u24_e32 v12, 6, v24
	v_lshlrev_b32_e32 v20, 3, v12
	s_clause 0x2
	global_load_b128 v[12:15], v20, s[4:5] offset:520
	global_load_b128 v[16:19], v20, s[4:5] offset:552
	global_load_b128 v[20:23], v20, s[4:5] offset:536
	s_wait_loadcnt 0x2
	v_mul_f32_e32 v39, v27, v15
	v_mul_f32_e32 v33, v9, v13
	s_wait_loadcnt 0x0
	v_mul_f32_e32 v37, v7, v23
	v_lshl_add_u32 v24, v24, 3, 0
	v_dual_mul_f32 v36, v3, v19 :: v_dual_mul_f32 v41, v1, v17
	v_dual_mul_f32 v38, v5, v21 :: v_dual_mul_f32 v19, v2, v19
	s_delay_alu instid0(VALU_DEP_3)
	v_add_nc_u32_e32 v25, 0x2000, v24
	v_add_nc_u32_e32 v28, 0x2400, v24
	;; [unrolled: 1-line block ×3, first 2 shown]
	v_dual_mul_f32 v13, v8, v13 :: v_dual_fmac_f32 v36, v2, v18
	v_fmac_f32_e32 v39, v26, v14
	v_fmac_f32_e32 v41, v0, v16
	v_mul_f32_e32 v23, v6, v23
	v_fmac_f32_e32 v33, v8, v12
	v_mul_f32_e32 v21, v4, v21
	v_fmac_f32_e32 v38, v4, v20
	v_fma_f32 v2, v9, v12, -v13
	v_sub_f32_e32 v8, v39, v41
	v_fma_f32 v4, v7, v22, -v23
	v_mul_f32_e32 v17, v0, v17
	v_fmac_f32_e32 v37, v6, v22
	v_fma_f32 v0, v3, v18, -v19
	v_sub_f32_e32 v6, v33, v36
	v_fma_f32 v3, v5, v20, -v21
	s_delay_alu instid0(VALU_DEP_3) | instskip(NEXT) | instid1(VALU_DEP_2)
	v_add_f32_e32 v9, v2, v0
	v_add_f32_e32 v12, v3, v4
	v_fma_f32 v1, v1, v16, -v17
	v_sub_f32_e32 v0, v2, v0
	v_dual_sub_f32 v2, v4, v3 :: v_dual_sub_f32 v7, v37, v38
	s_delay_alu instid0(VALU_DEP_1) | instskip(SKIP_1) | instid1(VALU_DEP_2)
	v_sub_f32_e32 v4, v7, v8
	v_dual_add_f32 v16, v39, v41 :: v_dual_mul_f32 v15, v26, v15
	v_mul_f32_e32 v4, 0x3f08b237, v4
	s_delay_alu instid0(VALU_DEP_2) | instskip(SKIP_1) | instid1(VALU_DEP_2)
	v_fma_f32 v5, v27, v14, -v15
	v_add_f32_e32 v14, v33, v36
	v_add_f32_e32 v13, v5, v1
	v_sub_f32_e32 v1, v5, v1
	v_dual_add_f32 v15, v38, v37 :: v_dual_sub_f32 v22, v0, v2
	s_delay_alu instid0(VALU_DEP_1) | instskip(SKIP_3) | instid1(VALU_DEP_4)
	v_dual_sub_f32 v20, v15, v16 :: v_dual_sub_f32 v3, v6, v7
	v_add_f32_e32 v5, v7, v8
	v_sub_f32_e32 v19, v14, v15
	v_dual_sub_f32 v23, v2, v1 :: v_dual_sub_f32 v8, v8, v6
	v_fmamk_f32 v26, v3, 0xbeae86e6, v4
	v_add_f32_e32 v18, v13, v9
	v_sub_f32_e32 v7, v9, v12
	v_sub_f32_e32 v17, v12, v13
	v_add_f32_e32 v2, v2, v1
	v_sub_f32_e32 v9, v13, v9
	v_sub_f32_e32 v13, v16, v14
	v_add_f32_e32 v12, v12, v18
	v_dual_mul_f32 v18, 0x3d64c772, v20 :: v_dual_add_f32 v21, v16, v14
	v_mul_f32_e32 v16, 0x3f4a47b2, v19
	v_dual_sub_f32 v14, v1, v0 :: v_dual_mul_f32 v19, 0x3f08b237, v23
	v_dual_add_f32 v5, v5, v6 :: v_dual_mul_f32 v6, 0x3f4a47b2, v7
	v_dual_mul_f32 v7, 0x3d64c772, v17 :: v_dual_add_f32 v2, v2, v0
	s_delay_alu instid0(VALU_DEP_3) | instskip(NEXT) | instid1(VALU_DEP_4)
	v_mul_f32_e32 v23, 0xbf5ff5aa, v14
	v_fma_f32 v14, 0xbf5ff5aa, v14, -v19
	v_add_f32_e32 v1, v11, v12
	s_delay_alu instid0(VALU_DEP_4) | instskip(NEXT) | instid1(VALU_DEP_3)
	v_fma_f32 v7, 0x3f3bfb3b, v9, -v7
	v_fmac_f32_e32 v14, 0xbee1c552, v2
	v_fmamk_f32 v11, v20, 0x3d64c772, v16
	v_dual_fmamk_f32 v20, v22, 0xbeae86e6, v19 :: v_dual_add_f32 v15, v15, v21
	v_mul_f32_e32 v21, 0xbf5ff5aa, v8
	v_fmac_f32_e32 v26, 0xbee1c552, v5
	v_fma_f32 v8, 0xbf5ff5aa, v8, -v4
	s_delay_alu instid0(VALU_DEP_4)
	v_fmac_f32_e32 v20, 0xbee1c552, v2
	v_add_f32_e32 v0, v10, v15
	v_fma_f32 v10, 0x3eae86e6, v3, -v21
	v_fma_f32 v3, 0xbf3bfb3b, v9, -v6
	v_fmamk_f32 v9, v12, 0xbf955555, v1
	v_fma_f32 v4, 0x3f3bfb3b, v13, -v18
	v_fmamk_f32 v12, v15, 0xbf955555, v0
	v_fmac_f32_e32 v10, 0xbee1c552, v5
	s_delay_alu instid0(VALU_DEP_2) | instskip(SKIP_3) | instid1(VALU_DEP_2)
	v_dual_fmac_f32 v8, 0xbee1c552, v5 :: v_dual_add_f32 v15, v11, v12
	v_fmamk_f32 v17, v17, 0x3d64c772, v6
	v_fma_f32 v6, 0xbf3bfb3b, v13, -v16
	v_fma_f32 v16, 0x3eae86e6, v22, -v23
	v_dual_add_f32 v11, v3, v9 :: v_dual_add_f32 v6, v6, v12
	s_delay_alu instid0(VALU_DEP_2)
	v_fmac_f32_e32 v16, 0xbee1c552, v2
	v_add_f32_e32 v2, v17, v9
	v_add_f32_e32 v9, v7, v9
	;; [unrolled: 1-line block ×5, first 2 shown]
	v_sub_f32_e32 v13, v2, v26
	v_sub_f32_e32 v7, v9, v8
	v_dual_add_f32 v9, v8, v9 :: v_dual_sub_f32 v8, v17, v14
	v_sub_f32_e32 v11, v11, v10
	v_add_f32_e32 v10, v16, v6
	v_sub_f32_e32 v4, v6, v16
	v_add_f32_e32 v6, v14, v17
	v_dual_add_f32 v3, v26, v2 :: v_dual_sub_f32 v2, v15, v20
	ds_store_2addr_b64 v25, v[0:1], v[12:13] offset0:68 offset1:146
	ds_store_2addr_b64 v28, v[10:11], v[8:9] offset0:96 offset1:174
	;; [unrolled: 1-line block ×3, first 2 shown]
	ds_store_b64 v24, v[2:3] offset:12480
.LBB0_29:
	s_wait_alu 0xfffe
	s_or_b32 exec_lo, exec_lo, s1
	v_dual_mov_b32 v1, 0 :: v_dual_lshlrev_b32 v0, 1, v32
	global_wb scope:SCOPE_SE
	s_wait_dscnt 0x0
	s_barrier_signal -1
	s_barrier_wait -1
	global_inv scope:SCOPE_SE
	v_lshlrev_b64_e32 v[2:3], 3, v[0:1]
	s_delay_alu instid0(VALU_DEP_1) | instskip(SKIP_1) | instid1(VALU_DEP_2)
	v_add_co_u32 v2, s0, s4, v2
	s_wait_alu 0xf1ff
	v_add_co_ci_u32_e64 v3, s0, s5, v3, s0
	global_load_b128 v[2:5], v[2:3], off offset:4264
	v_lshlrev_b32_e32 v0, 1, v31
	s_delay_alu instid0(VALU_DEP_1) | instskip(NEXT) | instid1(VALU_DEP_1)
	v_lshlrev_b64_e32 v[6:7], 3, v[0:1]
	v_add_co_u32 v6, s0, s4, v6
	s_wait_alu 0xf1ff
	s_delay_alu instid0(VALU_DEP_2) | instskip(SKIP_4) | instid1(VALU_DEP_3)
	v_add_co_ci_u32_e64 v7, s0, s5, v7, s0
	global_load_b128 v[6:9], v[6:7], off offset:4264
	v_lshlrev_b32_e32 v0, 1, v30
	v_add_nc_u32_e32 v33, 0x2000, v40
	v_add_nc_u32_e32 v36, 0x1600, v40
	v_lshlrev_b64_e32 v[10:11], 3, v[0:1]
	v_add_nc_u32_e32 v0, 0xa00, v40
	s_delay_alu instid0(VALU_DEP_2) | instskip(SKIP_1) | instid1(VALU_DEP_3)
	v_add_co_u32 v10, s0, s4, v10
	s_wait_alu 0xf1ff
	v_add_co_ci_u32_e64 v11, s0, s5, v11, s0
	global_load_b128 v[10:13], v[10:11], off offset:4264
	ds_load_2addr_b64 v[14:17], v0 offset0:44 offset1:226
	ds_load_2addr_b64 v[18:21], v33 offset0:68 offset1:250
	;; [unrolled: 1-line block ×3, first 2 shown]
	ds_load_2addr_b64 v[26:29], v40 offset1:182
	ds_load_b64 v[30:31], v40 offset:11648
	global_wb scope:SCOPE_SE
	s_wait_loadcnt_dscnt 0x0
	s_barrier_signal -1
	s_barrier_wait -1
	global_inv scope:SCOPE_SE
	v_mul_f32_e32 v37, v3, v17
	v_dual_mul_f32 v3, v3, v16 :: v_dual_mul_f32 v38, v5, v19
	v_mul_f32_e32 v5, v5, v18
	s_delay_alu instid0(VALU_DEP_3) | instskip(NEXT) | instid1(VALU_DEP_3)
	v_fmac_f32_e32 v37, v2, v16
	v_fma_f32 v2, v2, v17, -v3
	s_delay_alu instid0(VALU_DEP_4) | instskip(NEXT) | instid1(VALU_DEP_4)
	v_fmac_f32_e32 v38, v4, v18
	v_fma_f32 v5, v4, v19, -v5
	v_dual_mul_f32 v16, v7, v23 :: v_dual_mul_f32 v17, v9, v21
	v_mul_f32_e32 v3, v7, v22
	s_delay_alu instid0(VALU_DEP_2) | instskip(NEXT) | instid1(VALU_DEP_3)
	v_dual_mul_f32 v7, v9, v20 :: v_dual_fmac_f32 v16, v6, v22
	v_fmac_f32_e32 v17, v8, v20
	s_delay_alu instid0(VALU_DEP_3) | instskip(NEXT) | instid1(VALU_DEP_3)
	v_fma_f32 v6, v6, v23, -v3
	v_fma_f32 v9, v8, v21, -v7
	v_dual_add_f32 v7, v26, v37 :: v_dual_add_f32 v8, v37, v38
	v_add_f32_e32 v20, v2, v5
	v_mul_f32_e32 v18, v11, v25
	v_dual_mul_f32 v3, v11, v24 :: v_dual_mul_f32 v4, v30, v13
	v_mul_f32_e32 v19, v31, v13
	v_add_f32_e32 v13, v27, v2
	s_delay_alu instid0(VALU_DEP_4) | instskip(NEXT) | instid1(VALU_DEP_4)
	v_dual_sub_f32 v21, v37, v38 :: v_dual_fmac_f32 v18, v10, v24
	v_fma_f32 v10, v10, v25, -v3
	s_delay_alu instid0(VALU_DEP_4)
	v_fmac_f32_e32 v19, v30, v12
	v_fma_f32 v22, v31, v12, -v4
	v_add_f32_e32 v12, v16, v17
	v_fma_f32 v4, -0.5, v8, v26
	v_dual_add_f32 v8, v28, v16 :: v_dual_sub_f32 v11, v2, v5
	v_dual_add_f32 v2, v7, v38 :: v_dual_add_f32 v23, v6, v9
	v_add_f32_e32 v3, v13, v5
	v_fma_f32 v5, -0.5, v20, v27
	v_dual_sub_f32 v13, v6, v9 :: v_dual_add_f32 v20, v29, v6
	v_sub_f32_e32 v16, v16, v17
	v_fmamk_f32 v6, v11, 0xbf5db3d7, v4
	s_delay_alu instid0(VALU_DEP_4)
	v_dual_fmamk_f32 v7, v21, 0x3f5db3d7, v5 :: v_dual_fmac_f32 v4, 0x3f5db3d7, v11
	v_dual_add_f32 v8, v8, v17 :: v_dual_fmac_f32 v29, -0.5, v23
	v_fma_f32 v28, -0.5, v12, v28
	v_add_f32_e32 v17, v18, v19
	v_add_f32_e32 v23, v10, v22
	v_dual_fmac_f32 v5, 0xbf5db3d7, v21 :: v_dual_add_f32 v12, v14, v18
	v_dual_add_f32 v21, v15, v10 :: v_dual_sub_f32 v18, v18, v19
	v_dual_add_f32 v9, v20, v9 :: v_dual_sub_f32 v20, v10, v22
	v_fmamk_f32 v10, v13, 0xbf5db3d7, v28
	v_fmac_f32_e32 v28, 0x3f5db3d7, v13
	v_fma_f32 v14, -0.5, v17, v14
	v_fmac_f32_e32 v15, -0.5, v23
	v_fmamk_f32 v11, v16, 0x3f5db3d7, v29
	v_dual_fmac_f32 v29, 0xbf5db3d7, v16 :: v_dual_add_f32 v12, v12, v19
	s_delay_alu instid0(VALU_DEP_4) | instskip(NEXT) | instid1(VALU_DEP_4)
	v_dual_add_f32 v13, v21, v22 :: v_dual_fmamk_f32 v16, v20, 0xbf5db3d7, v14
	v_dual_fmamk_f32 v17, v18, 0x3f5db3d7, v15 :: v_dual_fmac_f32 v14, 0x3f5db3d7, v20
	v_fmac_f32_e32 v15, 0xbf5db3d7, v18
	ds_store_2addr_b64 v40, v[2:3], v[8:9] offset1:182
	ds_store_2addr_b64 v33, v[4:5], v[28:29] offset0:68 offset1:250
	ds_store_2addr_b64 v0, v[12:13], v[6:7] offset0:44 offset1:226
	;; [unrolled: 1-line block ×3, first 2 shown]
	ds_store_b64 v40, v[14:15] offset:11648
	global_wb scope:SCOPE_SE
	s_wait_dscnt 0x0
	s_barrier_signal -1
	s_barrier_wait -1
	global_inv scope:SCOPE_SE
	s_and_saveexec_b32 s0, vcc_lo
	s_cbranch_execz .LBB0_31
; %bb.30:
	v_dual_mov_b32 v33, v1 :: v_dual_add_nc_u32 v0, 0xb6, v32
	v_lshl_add_u32 v20, v32, 3, 0
	v_add_co_u32 v21, vcc_lo, s8, v34
	s_delay_alu instid0(VALU_DEP_3)
	v_lshlrev_b64_e32 v[6:7], 3, v[32:33]
	s_wait_alu 0xfffd
	v_add_co_ci_u32_e32 v22, vcc_lo, s9, v35, vcc_lo
	v_add_nc_u32_e32 v8, 0xa00, v20
	ds_load_2addr_b64 v[2:5], v20 offset1:182
	v_lshlrev_b64_e32 v[10:11], 3, v[0:1]
	v_add_nc_u32_e32 v0, 0x16c, v32
	v_add_co_u32 v12, vcc_lo, v21, v6
	s_wait_alu 0xfffd
	v_add_co_ci_u32_e32 v13, vcc_lo, v22, v7, vcc_lo
	ds_load_2addr_b64 v[6:9], v8 offset0:44 offset1:226
	v_lshlrev_b64_e32 v[14:15], 3, v[0:1]
	v_add_nc_u32_e32 v0, 0x222, v32
	v_add_co_u32 v10, vcc_lo, v21, v10
	s_wait_alu 0xfffd
	v_add_co_ci_u32_e32 v11, vcc_lo, v22, v11, vcc_lo
	s_delay_alu instid0(VALU_DEP_3) | instskip(SKIP_4) | instid1(VALU_DEP_3)
	v_lshlrev_b64_e32 v[16:17], 3, v[0:1]
	v_add_nc_u32_e32 v0, 0x2d8, v32
	v_add_co_u32 v14, vcc_lo, v21, v14
	s_wait_alu 0xfffd
	v_add_co_ci_u32_e32 v15, vcc_lo, v22, v15, vcc_lo
	v_lshlrev_b64_e32 v[18:19], 3, v[0:1]
	v_add_nc_u32_e32 v0, 0x38e, v32
	v_add_co_u32 v16, vcc_lo, v21, v16
	s_wait_alu 0xfffd
	v_add_co_ci_u32_e32 v17, vcc_lo, v22, v17, vcc_lo
	v_add_nc_u32_e32 v23, 0x1600, v20
	s_wait_dscnt 0x1
	s_clause 0x1
	global_store_b64 v[12:13], v[2:3], off
	global_store_b64 v[10:11], v[4:5], off
	s_wait_dscnt 0x0
	s_clause 0x1
	global_store_b64 v[14:15], v[6:7], off
	global_store_b64 v[16:17], v[8:9], off
	v_lshlrev_b64_e32 v[10:11], 3, v[0:1]
	v_add_nc_u32_e32 v0, 0x444, v32
	v_add_nc_u32_e32 v6, 0x2000, v20
	ds_load_2addr_b64 v[2:5], v23 offset0:24 offset1:206
	v_add_co_u32 v12, vcc_lo, v21, v18
	v_lshlrev_b64_e32 v[14:15], 3, v[0:1]
	v_add_nc_u32_e32 v0, 0x4fa, v32
	ds_load_2addr_b64 v[6:9], v6 offset0:68 offset1:250
	ds_load_b64 v[16:17], v20 offset:11648
	s_wait_alu 0xfffd
	v_add_co_ci_u32_e32 v13, vcc_lo, v22, v19, vcc_lo
	v_lshlrev_b64_e32 v[18:19], 3, v[0:1]
	v_add_nc_u32_e32 v0, 0x5b0, v32
	v_add_co_u32 v10, vcc_lo, v21, v10
	s_wait_alu 0xfffd
	v_add_co_ci_u32_e32 v11, vcc_lo, v22, v11, vcc_lo
	v_add_co_u32 v14, vcc_lo, v21, v14
	v_lshlrev_b64_e32 v[0:1], 3, v[0:1]
	s_wait_alu 0xfffd
	v_add_co_ci_u32_e32 v15, vcc_lo, v22, v15, vcc_lo
	v_add_co_u32 v18, vcc_lo, v21, v18
	s_wait_alu 0xfffd
	v_add_co_ci_u32_e32 v19, vcc_lo, v22, v19, vcc_lo
	v_add_co_u32 v0, vcc_lo, v21, v0
	s_wait_alu 0xfffd
	v_add_co_ci_u32_e32 v1, vcc_lo, v22, v1, vcc_lo
	s_wait_dscnt 0x2
	s_clause 0x1
	global_store_b64 v[12:13], v[2:3], off
	global_store_b64 v[10:11], v[4:5], off
	s_wait_dscnt 0x1
	s_clause 0x1
	global_store_b64 v[14:15], v[6:7], off
	global_store_b64 v[18:19], v[8:9], off
	s_wait_dscnt 0x0
	global_store_b64 v[0:1], v[16:17], off
.LBB0_31:
	s_nop 0
	s_sendmsg sendmsg(MSG_DEALLOC_VGPRS)
	s_endpgm
	.section	.rodata,"a",@progbits
	.p2align	6, 0x0
	.amdhsa_kernel fft_rtc_back_len1638_factors_13_2_3_7_3_wgs_182_tpt_182_halfLds_sp_ip_CI_unitstride_sbrr_C2R_dirReg
		.amdhsa_group_segment_fixed_size 0
		.amdhsa_private_segment_fixed_size 0
		.amdhsa_kernarg_size 88
		.amdhsa_user_sgpr_count 2
		.amdhsa_user_sgpr_dispatch_ptr 0
		.amdhsa_user_sgpr_queue_ptr 0
		.amdhsa_user_sgpr_kernarg_segment_ptr 1
		.amdhsa_user_sgpr_dispatch_id 0
		.amdhsa_user_sgpr_private_segment_size 0
		.amdhsa_wavefront_size32 1
		.amdhsa_uses_dynamic_stack 0
		.amdhsa_enable_private_segment 0
		.amdhsa_system_sgpr_workgroup_id_x 1
		.amdhsa_system_sgpr_workgroup_id_y 0
		.amdhsa_system_sgpr_workgroup_id_z 0
		.amdhsa_system_sgpr_workgroup_info 0
		.amdhsa_system_vgpr_workitem_id 0
		.amdhsa_next_free_vgpr 141
		.amdhsa_next_free_sgpr 32
		.amdhsa_reserve_vcc 1
		.amdhsa_float_round_mode_32 0
		.amdhsa_float_round_mode_16_64 0
		.amdhsa_float_denorm_mode_32 3
		.amdhsa_float_denorm_mode_16_64 3
		.amdhsa_fp16_overflow 0
		.amdhsa_workgroup_processor_mode 1
		.amdhsa_memory_ordered 1
		.amdhsa_forward_progress 0
		.amdhsa_round_robin_scheduling 0
		.amdhsa_exception_fp_ieee_invalid_op 0
		.amdhsa_exception_fp_denorm_src 0
		.amdhsa_exception_fp_ieee_div_zero 0
		.amdhsa_exception_fp_ieee_overflow 0
		.amdhsa_exception_fp_ieee_underflow 0
		.amdhsa_exception_fp_ieee_inexact 0
		.amdhsa_exception_int_div_zero 0
	.end_amdhsa_kernel
	.text
.Lfunc_end0:
	.size	fft_rtc_back_len1638_factors_13_2_3_7_3_wgs_182_tpt_182_halfLds_sp_ip_CI_unitstride_sbrr_C2R_dirReg, .Lfunc_end0-fft_rtc_back_len1638_factors_13_2_3_7_3_wgs_182_tpt_182_halfLds_sp_ip_CI_unitstride_sbrr_C2R_dirReg
                                        ; -- End function
	.section	.AMDGPU.csdata,"",@progbits
; Kernel info:
; codeLenInByte = 10708
; NumSgprs: 34
; NumVgprs: 141
; ScratchSize: 0
; MemoryBound: 0
; FloatMode: 240
; IeeeMode: 1
; LDSByteSize: 0 bytes/workgroup (compile time only)
; SGPRBlocks: 4
; VGPRBlocks: 17
; NumSGPRsForWavesPerEU: 34
; NumVGPRsForWavesPerEU: 141
; Occupancy: 10
; WaveLimiterHint : 1
; COMPUTE_PGM_RSRC2:SCRATCH_EN: 0
; COMPUTE_PGM_RSRC2:USER_SGPR: 2
; COMPUTE_PGM_RSRC2:TRAP_HANDLER: 0
; COMPUTE_PGM_RSRC2:TGID_X_EN: 1
; COMPUTE_PGM_RSRC2:TGID_Y_EN: 0
; COMPUTE_PGM_RSRC2:TGID_Z_EN: 0
; COMPUTE_PGM_RSRC2:TIDIG_COMP_CNT: 0
	.text
	.p2alignl 7, 3214868480
	.fill 96, 4, 3214868480
	.type	__hip_cuid_fa2d0b4a9003d84c,@object ; @__hip_cuid_fa2d0b4a9003d84c
	.section	.bss,"aw",@nobits
	.globl	__hip_cuid_fa2d0b4a9003d84c
__hip_cuid_fa2d0b4a9003d84c:
	.byte	0                               ; 0x0
	.size	__hip_cuid_fa2d0b4a9003d84c, 1

	.ident	"AMD clang version 19.0.0git (https://github.com/RadeonOpenCompute/llvm-project roc-6.4.0 25133 c7fe45cf4b819c5991fe208aaa96edf142730f1d)"
	.section	".note.GNU-stack","",@progbits
	.addrsig
	.addrsig_sym __hip_cuid_fa2d0b4a9003d84c
	.amdgpu_metadata
---
amdhsa.kernels:
  - .args:
      - .actual_access:  read_only
        .address_space:  global
        .offset:         0
        .size:           8
        .value_kind:     global_buffer
      - .offset:         8
        .size:           8
        .value_kind:     by_value
      - .actual_access:  read_only
        .address_space:  global
        .offset:         16
        .size:           8
        .value_kind:     global_buffer
      - .actual_access:  read_only
        .address_space:  global
        .offset:         24
        .size:           8
        .value_kind:     global_buffer
      - .offset:         32
        .size:           8
        .value_kind:     by_value
      - .actual_access:  read_only
        .address_space:  global
        .offset:         40
        .size:           8
        .value_kind:     global_buffer
      - .actual_access:  read_only
        .address_space:  global
        .offset:         48
        .size:           8
        .value_kind:     global_buffer
      - .offset:         56
        .size:           4
        .value_kind:     by_value
      - .actual_access:  read_only
        .address_space:  global
        .offset:         64
        .size:           8
        .value_kind:     global_buffer
      - .actual_access:  read_only
        .address_space:  global
        .offset:         72
        .size:           8
        .value_kind:     global_buffer
      - .address_space:  global
        .offset:         80
        .size:           8
        .value_kind:     global_buffer
    .group_segment_fixed_size: 0
    .kernarg_segment_align: 8
    .kernarg_segment_size: 88
    .language:       OpenCL C
    .language_version:
      - 2
      - 0
    .max_flat_workgroup_size: 182
    .name:           fft_rtc_back_len1638_factors_13_2_3_7_3_wgs_182_tpt_182_halfLds_sp_ip_CI_unitstride_sbrr_C2R_dirReg
    .private_segment_fixed_size: 0
    .sgpr_count:     34
    .sgpr_spill_count: 0
    .symbol:         fft_rtc_back_len1638_factors_13_2_3_7_3_wgs_182_tpt_182_halfLds_sp_ip_CI_unitstride_sbrr_C2R_dirReg.kd
    .uniform_work_group_size: 1
    .uses_dynamic_stack: false
    .vgpr_count:     141
    .vgpr_spill_count: 0
    .wavefront_size: 32
    .workgroup_processor_mode: 1
amdhsa.target:   amdgcn-amd-amdhsa--gfx1201
amdhsa.version:
  - 1
  - 2
...

	.end_amdgpu_metadata
